;; amdgpu-corpus repo=ROCm/aiter kind=harvested arch=n/a opt=n/a

/root/src/amdgpu-assembly/repos/ROCm__aiter/hsa/gfx950/fmoe_2stages/fmoe_stage1_bf16_pertokenFp8_doweight_g1u1_144x128_pf3.co:	file format elf64-amdgpu

Disassembly of section .text:

0000000000002a00 <_ZN5aiter54fmoe_stage1_bf16_pertokenFp8_doweight_g1u1_144x128_pf3E>:
	s_and_b32 s1, s1, 0xffff                                   // 000000002A00: 8601FF01 0000FFFF
	s_load_dwordx2 s[8:9], s[0:1], 0x0                         // 000000002A08: C0060200 00000000
	s_load_dwordx2 s[20:21], s[0:1], 0x10                      // 000000002A10: C0060500 00000010
	s_load_dwordx2 s[24:25], s[0:1], 0x20                      // 000000002A18: C0060600 00000020
	s_load_dwordx2 s[48:49], s[0:1], 0x30                      // 000000002A20: C0060C00 00000030
	s_load_dwordx2 s[28:29], s[0:1], 0x40                      // 000000002A28: C0060700 00000040
	s_load_dwordx2 s[32:33], s[0:1], 0x50                      // 000000002A30: C0060800 00000050
	s_load_dwordx2 s[36:37], s[0:1], 0x60                      // 000000002A38: C0060900 00000060
	s_load_dwordx2 s[12:13], s[0:1], 0x70                      // 000000002A40: C0060300 00000070
	s_load_dwordx2 s[44:45], s[0:1], 0x80                      // 000000002A48: C0060B00 00000080
	s_mov_b32 s89, 0                                           // 000000002A50: BED90080
	s_load_dword s64, s[0:1], 0x90                             // 000000002A54: C0021000 00000090
	s_load_dword s65, s[0:1], 0xa0                             // 000000002A5C: C0021040 000000A0
	s_load_dword s66, s[0:1], 0xb0                             // 000000002A64: C0021080 000000B0
	s_load_dword s67, s[0:1], 0xc0                             // 000000002A6C: C00210C0 000000C0
	s_load_dword s68, s[0:1], 0xd0                             // 000000002A74: C0021100 000000D0
	s_load_dword s69, s[0:1], 0xe0                             // 000000002A7C: C0021140 000000E0
	s_load_dword s71, s[0:1], 0xf0                             // 000000002A84: C00211C0 000000F0
	s_load_dword s72, s[0:1], 0x100                            // 000000002A8C: C0021200 00000100
	s_load_dword s74, s[0:1], 0x110                            // 000000002A94: C0021280 00000110
	s_load_dword s76, s[0:1], 0x120                            // 000000002A9C: C0021300 00000120
	s_load_dword s56, s[0:1], 0x130                            // 000000002AA4: C0020E00 00000130
	s_load_dword s88, s[0:1], 0x140                            // 000000002AAC: C0021600 00000140
	s_load_dword s89, s[0:1], 0x150                            // 000000002AB4: C0021640 00000150
	s_load_dwordx2 s[40:41], s[0:1], 0x160                     // 000000002ABC: C0060A00 00000160
	v_lshrrev_b32_e32 v1, 10, v0                               // 000000002AC4: 2002008A
	v_lshrrev_b32_e32 v2, 10, v1                               // 000000002AC8: 2004028A
	v_and_b32_e32 v2, 0x3ff, v2                                // 000000002ACC: 260404FF 000003FF
	v_and_b32_e32 v1, 0x3ff, v1                                // 000000002AD4: 260202FF 000003FF
	v_and_b32_e32 v0, 0x3ff, v0                                // 000000002ADC: 260000FF 000003FF
	v_lshrrev_b32_e32 v3, 6, v0                                // 000000002AE4: 20060086
	v_and_b32_e32 v0, 63, v0                                   // 000000002AE8: 260000BF
	s_mov_b32 s2, s2                                           // 000000002AEC: BE820002
	s_mov_b32 s3, s3                                           // 000000002AF0: BE830003
	s_mov_b32 s4, s4                                           // 000000002AF4: BE840004
	v_readfirstlane_b32 s7, v3                                 // 000000002AF8: 7E0E0503
	s_waitcnt lgkmcnt(0)                                       // 000000002AFC: BF8CC07F
	s_and_b32 s49, s49, 0xffff                                 // 000000002B00: 8631FF31 0000FFFF
	s_load_dword s48, s[48:49], 0x0                            // 000000002B08: C0020C18 00000000
	s_and_b32 s45, s45, 0xffff                                 // 000000002B10: 862DFF2D 0000FFFF
	s_and_b32 s9, s9, 0xffff                                   // 000000002B18: 8609FF09 0000FFFF
	s_mul_i32 s60, s66, s68                                    // 000000002B20: 923C4442
	s_mul_i32 s61, s66, 4                                      // 000000002B24: 923D8442
	s_mov_b32 s22, s60                                         // 000000002B28: BE96003C
	s_mov_b32 s26, -16                                         // 000000002B2C: BE9A00D0
	s_mov_b32 s30, s61                                         // 000000002B30: BE9E003D
	s_mov_b32 s14, 0x240                                       // 000000002B34: BE8E00FF 00000240
	s_mov_b32 s38, -16                                         // 000000002B3C: BEA600D0
	s_mov_b32 s10, -16                                         // 000000002B40: BE8A00D0
	s_mov_b32 s34, 0x200                                       // 000000002B44: BEA200FF 00000200
	s_mov_b32 s23, 0x20000                                     // 000000002B4C: BE9700FF 00020000
	s_mov_b32 s27, 0x20000                                     // 000000002B54: BE9B00FF 00020000
	s_mov_b32 s31, 0x20000                                     // 000000002B5C: BE9F00FF 00020000
	s_mov_b32 s35, 0x20000                                     // 000000002B64: BEA300FF 00020000
	s_mov_b32 s15, 0x20000                                     // 000000002B6C: BE8F00FF 00020000
	s_mov_b32 s39, 0x20000                                     // 000000002B74: BEA700FF 00020000
	s_mov_b32 s11, 0x20000                                     // 000000002B7C: BE8B00FF 00020000
	s_and_b32 s21, s21, 0xffff                                 // 000000002B84: 8615FF15 0000FFFF
	s_and_b32 s25, s25, 0xffff                                 // 000000002B8C: 8619FF19 0000FFFF
	s_and_b32 s29, s29, 0xffff                                 // 000000002B94: 861DFF1D 0000FFFF
	s_and_b32 s33, s33, 0xffff                                 // 000000002B9C: 8621FF21 0000FFFF
	s_and_b32 s13, s13, 0xffff                                 // 000000002BA4: 860DFF0D 0000FFFF
	s_and_b32 s37, s37, 0xffff                                 // 000000002BAC: 8625FF25 0000FFFF
	s_or_b32 s21, s21, 0x40000                                 // 000000002BB4: 8715FF15 00040000
	s_or_b32 s25, s25, 0x40000                                 // 000000002BBC: 8719FF19 00040000
	s_or_b32 s29, s29, 0x40000                                 // 000000002BC4: 871DFF1D 00040000
	s_or_b32 s33, s33, 0x40000                                 // 000000002BCC: 8721FF21 00040000
	s_or_b32 s13, s13, 0x40000                                 // 000000002BD4: 870DFF0D 00040000
	s_or_b32 s37, s37, 0x40000                                 // 000000002BDC: 8725FF25 00040000
	s_mov_b32 s42, -16                                         // 000000002BE4: BEAA00D0
	s_mov_b32 s43, 0x20000                                     // 000000002BE8: BEAB00FF 00020000
	s_and_b32 s41, s41, 0xffff                                 // 000000002BF0: 8629FF29 0000FFFF
	s_or_b32 s41, s41, 0x40000                                 // 000000002BF8: 8729FF29 00040000
	v_accvgpr_write_b32 a191, 0                                // 000000002C00: D3D940BF 18000080
	v_mov_b32_e32 v240, 0                                      // 000000002C08: 7FE00280
	s_waitcnt lgkmcnt(0)                                       // 000000002C0C: BF8CC07F
	s_mul_i32 s60, s3, 0x90                                    // 000000002C10: 923CFF03 00000090
	s_cmp_lt_i32 s60, s48                                      // 000000002C18: BF04303C
	s_cbranch_scc0 label_432A                                  // 000000002C1C: BF84429F
	s_mov_b32 s80, 0                                           // 000000002C20: BED00080
	s_lshr_b32 s81, s64, s88                                   // 000000002C24: 8F515840
	s_mul_i32 s60, s3, 4                                       // 000000002C28: 923C8403
	s_add_u32 s44, s60, s44                                    // 000000002C2C: 802C2C3C
	s_addc_u32 s45, 0, s45                                     // 000000002C30: 822D2D80
	s_load_dword s5, s[44:45], 0x0                             // 000000002C34: C0020156 00000000
	s_mul_i32 s60, s3, 0x90                                    // 000000002C3C: 923CFF03 00000090
	s_mul_i32 s60, 4, s60                                      // 000000002C44: 923C3C84
	s_add_u32 s12, s60, s12                                    // 000000002C48: 800C0C3C
	s_addc_u32 s13, 0, s13                                     // 000000002C4C: 820D0D80
	v_and_b32_e32 v4, 15, v0                                   // 000000002C50: 2608008F
	v_lshlrev_b32_e32 v4, 2, v4                                // 000000002C54: 24080882
	buffer_load_dword v30, v4, s[12:15], 0 offen               // 000000002C58: E0501000 80031E04
	v_add_u32_e32 v4, 64, v4                                   // 000000002C60: 680808C0
	buffer_load_dword v31, v4, s[12:15], 0 offen               // 000000002C64: E0501000 80031F04
	v_add_u32_e32 v4, 64, v4                                   // 000000002C6C: 680808C0
	buffer_load_dword v32, v4, s[12:15], 0 offen               // 000000002C70: E0501000 80032004
	v_add_u32_e32 v4, 64, v4                                   // 000000002C78: 680808C0
	buffer_load_dword v33, v4, s[12:15], 0 offen               // 000000002C7C: E0501000 80032104
	v_add_u32_e32 v4, 64, v4                                   // 000000002C84: 680808C0
	buffer_load_dword v34, v4, s[12:15], 0 offen               // 000000002C88: E0501000 80032204
	v_add_u32_e32 v4, 64, v4                                   // 000000002C90: 680808C0
	buffer_load_dword v35, v4, s[12:15], 0 offen               // 000000002C94: E0501000 80032304
	v_add_u32_e32 v4, 64, v4                                   // 000000002C9C: 680808C0
	buffer_load_dword v36, v4, s[12:15], 0 offen               // 000000002CA0: E0501000 80032404
	v_add_u32_e32 v4, 64, v4                                   // 000000002CA8: 680808C0
	buffer_load_dword v37, v4, s[12:15], 0 offen               // 000000002CAC: E0501000 80032504
	v_add_u32_e32 v4, 64, v4                                   // 000000002CB4: 680808C0
	buffer_load_dword v38, v4, s[12:15], 0 offen               // 000000002CB8: E0501000 80032604
	v_add_u32_e32 v4, 64, v4                                   // 000000002CC0: 680808C0
	s_mul_i32 s60, 4, s7                                       // 000000002CC4: 923C0784
	v_lshlrev_b32_e32 v4, 4, v0                                // 000000002CC8: 24080084
	v_add_u32_e32 v4, s60, v4                                  // 000000002CCC: 6808083C
	buffer_load_dword v3, v4, s[12:15], 0 offen                // 000000002CD0: E0501000 80030304
	v_mov_b32_e32 v88, 0                                       // 000000002CD8: 7EB00280
	v_mov_b32_e32 v160, 0                                      // 000000002CDC: 7F400280
	v_mov_b32_e32 v89, 0                                       // 000000002CE0: 7EB20280
	v_mov_b32_e32 v161, 0                                      // 000000002CE4: 7F420280
	v_mov_b32_e32 v90, 0                                       // 000000002CE8: 7EB40280
	v_mov_b32_e32 v162, 0                                      // 000000002CEC: 7F440280
	v_mov_b32_e32 v91, 0                                       // 000000002CF0: 7EB60280
	v_mov_b32_e32 v163, 0                                      // 000000002CF4: 7F460280
	v_mov_b32_e32 v92, 0                                       // 000000002CF8: 7EB80280
	v_mov_b32_e32 v164, 0                                      // 000000002CFC: 7F480280
	v_mov_b32_e32 v93, 0                                       // 000000002D00: 7EBA0280
	v_mov_b32_e32 v165, 0                                      // 000000002D04: 7F4A0280
	v_mov_b32_e32 v94, 0                                       // 000000002D08: 7EBC0280
	v_mov_b32_e32 v166, 0                                      // 000000002D0C: 7F4C0280
	v_mov_b32_e32 v95, 0                                       // 000000002D10: 7EBE0280
	v_mov_b32_e32 v167, 0                                      // 000000002D14: 7F4E0280
	v_mov_b32_e32 v96, 0                                       // 000000002D18: 7EC00280
	v_mov_b32_e32 v168, 0                                      // 000000002D1C: 7F500280
	v_mov_b32_e32 v97, 0                                       // 000000002D20: 7EC20280
	v_mov_b32_e32 v169, 0                                      // 000000002D24: 7F520280
	v_mov_b32_e32 v98, 0                                       // 000000002D28: 7EC40280
	v_mov_b32_e32 v170, 0                                      // 000000002D2C: 7F540280
	v_mov_b32_e32 v99, 0                                       // 000000002D30: 7EC60280
	v_mov_b32_e32 v171, 0                                      // 000000002D34: 7F560280
	v_mov_b32_e32 v100, 0                                      // 000000002D38: 7EC80280
	v_mov_b32_e32 v172, 0                                      // 000000002D3C: 7F580280
	v_mov_b32_e32 v101, 0                                      // 000000002D40: 7ECA0280
	v_mov_b32_e32 v173, 0                                      // 000000002D44: 7F5A0280
	v_mov_b32_e32 v102, 0                                      // 000000002D48: 7ECC0280
	v_mov_b32_e32 v174, 0                                      // 000000002D4C: 7F5C0280
	v_mov_b32_e32 v103, 0                                      // 000000002D50: 7ECE0280
	v_mov_b32_e32 v175, 0                                      // 000000002D54: 7F5E0280
	v_mov_b32_e32 v104, 0                                      // 000000002D58: 7ED00280
	v_mov_b32_e32 v176, 0                                      // 000000002D5C: 7F600280
	v_mov_b32_e32 v105, 0                                      // 000000002D60: 7ED20280
	v_mov_b32_e32 v177, 0                                      // 000000002D64: 7F620280
	v_mov_b32_e32 v106, 0                                      // 000000002D68: 7ED40280
	v_mov_b32_e32 v178, 0                                      // 000000002D6C: 7F640280
	v_mov_b32_e32 v107, 0                                      // 000000002D70: 7ED60280
	v_mov_b32_e32 v179, 0                                      // 000000002D74: 7F660280
	v_mov_b32_e32 v108, 0                                      // 000000002D78: 7ED80280
	v_mov_b32_e32 v180, 0                                      // 000000002D7C: 7F680280
	v_mov_b32_e32 v109, 0                                      // 000000002D80: 7EDA0280
	v_mov_b32_e32 v181, 0                                      // 000000002D84: 7F6A0280
	v_mov_b32_e32 v110, 0                                      // 000000002D88: 7EDC0280
	v_mov_b32_e32 v182, 0                                      // 000000002D8C: 7F6C0280
	v_mov_b32_e32 v111, 0                                      // 000000002D90: 7EDE0280
	v_mov_b32_e32 v183, 0                                      // 000000002D94: 7F6E0280
	v_mov_b32_e32 v112, 0                                      // 000000002D98: 7EE00280
	v_mov_b32_e32 v184, 0                                      // 000000002D9C: 7F700280
	v_mov_b32_e32 v113, 0                                      // 000000002DA0: 7EE20280
	v_mov_b32_e32 v185, 0                                      // 000000002DA4: 7F720280
	v_mov_b32_e32 v114, 0                                      // 000000002DA8: 7EE40280
	v_mov_b32_e32 v186, 0                                      // 000000002DAC: 7F740280
	v_mov_b32_e32 v115, 0                                      // 000000002DB0: 7EE60280
	v_mov_b32_e32 v187, 0                                      // 000000002DB4: 7F760280
	v_mov_b32_e32 v116, 0                                      // 000000002DB8: 7EE80280
	v_mov_b32_e32 v188, 0                                      // 000000002DBC: 7F780280
	v_mov_b32_e32 v117, 0                                      // 000000002DC0: 7EEA0280
	v_mov_b32_e32 v189, 0                                      // 000000002DC4: 7F7A0280
	v_mov_b32_e32 v118, 0                                      // 000000002DC8: 7EEC0280
	v_mov_b32_e32 v190, 0                                      // 000000002DCC: 7F7C0280
	v_mov_b32_e32 v119, 0                                      // 000000002DD0: 7EEE0280
	v_mov_b32_e32 v191, 0                                      // 000000002DD4: 7F7E0280
	v_mov_b32_e32 v120, 0                                      // 000000002DD8: 7EF00280
	v_mov_b32_e32 v192, 0                                      // 000000002DDC: 7F800280
	v_mov_b32_e32 v121, 0                                      // 000000002DE0: 7EF20280
	v_mov_b32_e32 v193, 0                                      // 000000002DE4: 7F820280
	v_mov_b32_e32 v122, 0                                      // 000000002DE8: 7EF40280
	v_mov_b32_e32 v194, 0                                      // 000000002DEC: 7F840280
	v_mov_b32_e32 v123, 0                                      // 000000002DF0: 7EF60280
	v_mov_b32_e32 v195, 0                                      // 000000002DF4: 7F860280
	v_mov_b32_e32 v124, 0                                      // 000000002DF8: 7EF80280
	v_mov_b32_e32 v196, 0                                      // 000000002DFC: 7F880280
	v_mov_b32_e32 v125, 0                                      // 000000002E00: 7EFA0280
	v_mov_b32_e32 v197, 0                                      // 000000002E04: 7F8A0280
	v_mov_b32_e32 v126, 0                                      // 000000002E08: 7EFC0280
	v_mov_b32_e32 v198, 0                                      // 000000002E0C: 7F8C0280
	v_mov_b32_e32 v127, 0                                      // 000000002E10: 7EFE0280
	v_mov_b32_e32 v199, 0                                      // 000000002E14: 7F8E0280
	v_mov_b32_e32 v128, 0                                      // 000000002E18: 7F000280
	v_mov_b32_e32 v200, 0                                      // 000000002E1C: 7F900280
	v_mov_b32_e32 v129, 0                                      // 000000002E20: 7F020280
	v_mov_b32_e32 v201, 0                                      // 000000002E24: 7F920280
	v_mov_b32_e32 v130, 0                                      // 000000002E28: 7F040280
	v_mov_b32_e32 v202, 0                                      // 000000002E2C: 7F940280
	v_mov_b32_e32 v131, 0                                      // 000000002E30: 7F060280
	v_mov_b32_e32 v203, 0                                      // 000000002E34: 7F960280
	v_mov_b32_e32 v132, 0                                      // 000000002E38: 7F080280
	v_mov_b32_e32 v204, 0                                      // 000000002E3C: 7F980280
	v_mov_b32_e32 v133, 0                                      // 000000002E40: 7F0A0280
	v_mov_b32_e32 v205, 0                                      // 000000002E44: 7F9A0280
	v_mov_b32_e32 v134, 0                                      // 000000002E48: 7F0C0280
	v_mov_b32_e32 v206, 0                                      // 000000002E4C: 7F9C0280
	v_mov_b32_e32 v135, 0                                      // 000000002E50: 7F0E0280
	v_mov_b32_e32 v207, 0                                      // 000000002E54: 7F9E0280
	v_mov_b32_e32 v136, 0                                      // 000000002E58: 7F100280
	v_mov_b32_e32 v208, 0                                      // 000000002E5C: 7FA00280
	v_mov_b32_e32 v137, 0                                      // 000000002E60: 7F120280
	v_mov_b32_e32 v209, 0                                      // 000000002E64: 7FA20280
	v_mov_b32_e32 v138, 0                                      // 000000002E68: 7F140280
	v_mov_b32_e32 v210, 0                                      // 000000002E6C: 7FA40280
	v_mov_b32_e32 v139, 0                                      // 000000002E70: 7F160280
	v_mov_b32_e32 v211, 0                                      // 000000002E74: 7FA60280
	v_mov_b32_e32 v140, 0                                      // 000000002E78: 7F180280
	v_mov_b32_e32 v212, 0                                      // 000000002E7C: 7FA80280
	v_mov_b32_e32 v141, 0                                      // 000000002E80: 7F1A0280
	v_mov_b32_e32 v213, 0                                      // 000000002E84: 7FAA0280
	v_mov_b32_e32 v142, 0                                      // 000000002E88: 7F1C0280
	v_mov_b32_e32 v214, 0                                      // 000000002E8C: 7FAC0280
	v_mov_b32_e32 v143, 0                                      // 000000002E90: 7F1E0280
	v_mov_b32_e32 v215, 0                                      // 000000002E94: 7FAE0280
	v_mov_b32_e32 v144, 0                                      // 000000002E98: 7F200280
	v_mov_b32_e32 v216, 0                                      // 000000002E9C: 7FB00280
	v_mov_b32_e32 v145, 0                                      // 000000002EA0: 7F220280
	v_mov_b32_e32 v217, 0                                      // 000000002EA4: 7FB20280
	v_mov_b32_e32 v146, 0                                      // 000000002EA8: 7F240280
	v_mov_b32_e32 v218, 0                                      // 000000002EAC: 7FB40280
	v_mov_b32_e32 v147, 0                                      // 000000002EB0: 7F260280
	v_mov_b32_e32 v219, 0                                      // 000000002EB4: 7FB60280
	v_mov_b32_e32 v148, 0                                      // 000000002EB8: 7F280280
	v_mov_b32_e32 v220, 0                                      // 000000002EBC: 7FB80280
	v_mov_b32_e32 v149, 0                                      // 000000002EC0: 7F2A0280
	v_mov_b32_e32 v221, 0                                      // 000000002EC4: 7FBA0280
	v_mov_b32_e32 v150, 0                                      // 000000002EC8: 7F2C0280
	v_mov_b32_e32 v222, 0                                      // 000000002ECC: 7FBC0280
	v_mov_b32_e32 v151, 0                                      // 000000002ED0: 7F2E0280
	v_mov_b32_e32 v223, 0                                      // 000000002ED4: 7FBE0280
	v_mov_b32_e32 v152, 0                                      // 000000002ED8: 7F300280
	v_mov_b32_e32 v224, 0                                      // 000000002EDC: 7FC00280
	v_mov_b32_e32 v153, 0                                      // 000000002EE0: 7F320280
	v_mov_b32_e32 v225, 0                                      // 000000002EE4: 7FC20280
	v_mov_b32_e32 v154, 0                                      // 000000002EE8: 7F340280
	v_mov_b32_e32 v226, 0                                      // 000000002EEC: 7FC40280
	v_mov_b32_e32 v155, 0                                      // 000000002EF0: 7F360280
	v_mov_b32_e32 v227, 0                                      // 000000002EF4: 7FC60280
	v_mov_b32_e32 v156, 0                                      // 000000002EF8: 7F380280
	v_mov_b32_e32 v228, 0                                      // 000000002EFC: 7FC80280
	v_mov_b32_e32 v157, 0                                      // 000000002F00: 7F3A0280
	v_mov_b32_e32 v229, 0                                      // 000000002F04: 7FCA0280
	v_mov_b32_e32 v158, 0                                      // 000000002F08: 7F3C0280
	v_mov_b32_e32 v230, 0                                      // 000000002F0C: 7FCC0280
	v_mov_b32_e32 v159, 0                                      // 000000002F10: 7F3E0280
	v_mov_b32_e32 v231, 0                                      // 000000002F14: 7FCE0280
	s_mul_i32 s60, s2, 0x100                                   // 000000002F18: 923CFF02 00000100
	s_cmp_eq_u32 s88, 0                                        // 000000002F20: BF068058
	s_cselect_b32 s61, 1, 2                                    // 000000002F24: 853D8281
	s_mul_i32 s60, s60, s61                                    // 000000002F28: 923C3D3C
	s_mov_b32 s90, s8                                          // 000000002F2C: BEDA0008
	s_mov_b32 s91, s9                                          // 000000002F30: BEDB0009
	s_add_u32 s8, s60, s8                                      // 000000002F34: 8008083C
	s_addc_u32 s9, 0, s9                                       // 000000002F38: 82090980
	v_lshrrev_b32_e32 v4, 4, v0                                // 000000002F3C: 20080084
	v_mul_lo_u32 v20, 34, v4                                   // 000000002F40: D2850014 000208A2
	v_and_b32_e32 v4, 15, v0                                   // 000000002F48: 2608008F
	v_mul_lo_u32 v5, 2, v4                                     // 000000002F4C: D2850005 00020882
	v_add_u32_e32 v20, v5, v20                                 // 000000002F54: 68282905
	s_mul_i32 s60, s7, 0x88                                    // 000000002F58: 923CFF07 00000088
	v_add_u32_e32 v20, s60, v20                                // 000000002F60: 6828283C
	v_lshlrev_b32_e32 v20, 2, v20                              // 000000002F64: 24282882
	v_and_b32_e32 v4, 31, v0                                   // 000000002F68: 2608009F
	v_lshrrev_b32_e32 v4, 1, v4                                // 000000002F6C: 20080881
	v_mul_lo_u32 v21, 34, v4                                   // 000000002F70: D2850015 000208A2
	v_lshrrev_b32_e32 v4, 5, v0                                // 000000002F78: 20080085
	v_mul_lo_u32 v4, 8, v4                                     // 000000002F7C: D2850004 00020888
	v_add_u32_e32 v21, v21, v4                                 // 000000002F84: 682A0915
	v_and_b32_e32 v5, 1, v0                                    // 000000002F88: 260A0081
	v_add_u32_e32 v21, v5, v21                                 // 000000002F8C: 682A2B05
	s_mul_i32 s60, s7, 2                                       // 000000002F90: 923C8207
	v_add_u32_e32 v21, s60, v21                                // 000000002F94: 682A2A3C
	v_lshlrev_b32_e32 v21, 2, v21                              // 000000002F98: 242A2A82
	s_mul_i32 s60, s7, 0x1220                                  // 000000002F9C: 923CFF07 00001220
	s_add_u32 s48, 0, s60                                      // 000000002FA4: 80303C80
	s_add_u32 s49, 0x4880, s48                                 // 000000002FA8: 803130FF 00004880
	s_add_u32 s50, 0x4880, s49                                 // 000000002FB0: 803231FF 00004880
	v_lshrrev_b32_e32 v4, 4, v0                                // 000000002FB8: 20080084
	v_lshlrev_b32_e32 v5, 2, v4                                // 000000002FBC: 240A0882
	v_and_b32_e32 v4, 15, v0                                   // 000000002FC0: 2608008F
	v_lshrrev_b32_e32 v6, 2, v4                                // 000000002FC4: 200C0882
	v_lshlrev_b32_e32 v6, 5, v6                                // 000000002FC8: 240C0C85
	v_add_u32_e32 v5, v6, v5                                   // 000000002FCC: 680A0B06
	v_and_b32_e32 v4, 3, v0                                    // 000000002FD0: 26080083
	v_mul_u32_u24_e32 v6, 0x488, v4                            // 000000002FD4: 100C08FF 00000488
	v_add_u32_e32 v5, v6, v5                                   // 000000002FDC: 680A0B06
	v_lshlrev_b32_e32 v2, 2, v5                                // 000000002FE0: 24040A82
	s_waitcnt lgkmcnt(0)                                       // 000000002FE4: BF8CC07F
	s_mul_i32 s60, s2, 0x80                                    // 000000002FE8: 923CFF02 00000080
	s_mul_i32 s60, s60, s69                                    // 000000002FF0: 923C453C
	s_mul_i32 s61, s5, s72                                     // 000000002FF4: 923D4805
	s_add_u32 s60, s61, s60                                    // 000000002FF8: 803C3C3D
	s_add_u32 s24, s60, s24                                    // 000000002FFC: 8018183C
	s_addc_u32 s25, 0, s25                                     // 000000003000: 82191980
	s_lshr_b32 s60, s64, s88                                   // 000000003004: 8F3C5840
	s_mul_i32 s60, s4, s60                                     // 000000003008: 923C3C04
	s_lshr_b32 s60, s60, 7                                     // 00000000300C: 8F3C873C
	s_mul_i32 s60, s60, 0x800                                  // 000000003010: 923CFF3C 00000800
	s_add_u32 s24, s60, s24                                    // 000000003018: 8018183C
	s_addc_u32 s25, 0, s25                                     // 00000000301C: 82191980
	s_lshr_b32 s60, s69, s88                                   // 000000003020: 8F3C5845
	s_mul_i32 s60, s4, s60                                     // 000000003024: 923C3C04
	s_add_u32 s20, s60, s20                                    // 000000003028: 8014143C
	s_addc_u32 s21, 0, s21                                     // 00000000302C: 82151580
	s_mul_i32 s60, s7, 16                                      // 000000003030: 923C9007
	s_mul_i32 s60, s60, s69                                    // 000000003034: 923C453C
	v_lshlrev_b32_e32 v84, 4, v0                               // 000000003038: 24A80084
	v_add_u32_e32 v84, s60, v84                                // 00000000303C: 68A8A83C
	s_mul_i32 s60, 64, s69                                     // 000000003040: 923C45C0
	v_add_u32_e32 v85, s60, v84                                // 000000003044: 68AAA83C
	s_mov_b32 s84, s24                                         // 000000003048: BED40018
	s_mov_b32 s85, s25                                         // 00000000304C: BED50019
	s_mov_b32 s86, s26                                         // 000000003050: BED6001A
	s_mov_b32 s87, s27                                         // 000000003054: BED7001B
	s_mul_i32 s60, s69, s65                                    // 000000003058: 923C4145
	s_add_u32 s84, s60, s84                                    // 00000000305C: 8054543C
	s_addc_u32 s85, 0, s85                                     // 000000003060: 82555580
	v_lshrrev_b32_e32 v4, 4, v0                                // 000000003064: 20080084
	v_lshlrev_b32_e32 v5, 2, v4                                // 000000003068: 240A0882
	v_and_b32_e32 v4, 15, v0                                   // 00000000306C: 2608008F
	v_lshrrev_b32_e32 v6, 2, v4                                // 000000003070: 200C0882
	v_lshlrev_b32_e32 v6, 6, v6                                // 000000003074: 240C0C86
	v_add_u32_e32 v5, v6, v5                                   // 000000003078: 680A0B06
	v_and_b32_e32 v4, 3, v0                                    // 00000000307C: 26080083
	v_add_u32_e32 v5, v4, v5                                   // 000000003080: 680A0B04
	v_lshlrev_b32_e32 v22, 2, v5                               // 000000003084: 242C0A82
	s_mul_i32 s60, s7, 16                                      // 000000003088: 923C9007
	s_mul_i32 s60, s60, 4                                      // 00000000308C: 923C843C
	v_add_u32_e32 v22, s60, v22                                // 000000003090: 682C2C3C
	s_mul_i32 s60, s2, 0x80                                    // 000000003094: 923CFF02 00000080
	s_mul_i32 s60, s60, 4                                      // 00000000309C: 923C843C
	s_mul_i32 s61, s5, s74                                     // 0000000030A0: 923D4A05
	s_add_u32 s61, s61, s60                                    // 0000000030A4: 803D3C3D
	s_add_u32 s32, s61, s32                                    // 0000000030A8: 8020203D
	s_addc_u32 s33, 0, s33                                     // 0000000030AC: 82212180
	s_mov_b32 s57, 0x80                                        // 0000000030B0: BEB900FF 00000080
	s_mov_b32 s58, 0x800                                       // 0000000030B8: BEBA00FF 00000800
	s_mov_b32 s83, s58                                         // 0000000030C0: BED3003A
	s_mov_b32 s52, 0x7060302                                   // 0000000030C4: BEB400FF 07060302
	s_mov_b32 s53, 0x400                                       // 0000000030CC: BEB500FF 00000400
	s_mov_b32 s54, 0x40100                                     // 0000000030D4: BEB600FF 00040100
	s_mov_b32 s55, 0x4020100                                   // 0000000030DC: BEB700FF 04020100
	s_mov_b32 s6, 0x3fb8aa3b                                   // 0000000030E4: BE8600FF 3FB8AA3B
	s_mov_b32 s78, 0xbd92220c                                  // 0000000030EC: BECE00FF BD92220C
	s_mov_b32 s79, 0xbd92220c                                  // 0000000030F4: BECF00FF BD92220C
	s_mov_b32 m0, s48                                          // 0000000030FC: BEFC0030
	v_mov_b32_e32 v1, 0xbfcc4231                               // 000000003100: 7E0202FF BFCC4231
	v_mov_b32_e32 v17, 0xffff0000                              // 000000003108: 7E2202FF FFFF0000
	v_mov_b32_e32 v18, 0x7fff0000                              // 000000003110: 7E2402FF 7FFF0000
	v_mov_b32_e32 v19, 0x7fff                                  // 000000003118: 7E2602FF 00007FFF
	s_waitcnt vmcnt(0) expcnt(0) lgkmcnt(0)                    // 000000003120: BF8C0000
	s_mul_i32 s60, s3, 0x90                                    // 000000003124: 923CFF03 00000090
	s_mul_i32 s60, 4, s60                                      // 00000000312C: 923C3C84
	s_add_u32 s40, s60, s40                                    // 000000003130: 8028283C
	s_addc_u32 s41, 0, s41                                     // 000000003134: 82292980
	v_and_b32_e32 v4, 15, v0                                   // 000000003138: 2608008F
	v_lshlrev_b32_e32 v4, 2, v4                                // 00000000313C: 24080882
	buffer_load_dword v232, v4, s[40:43], 0 offen              // 000000003140: E0501000 800AE804
	buffer_load_dword v233, v4, s[40:43], 0 offen offset:64    // 000000003148: E0501040 800AE904
	buffer_load_dword v234, v4, s[40:43], 0 offen offset:128   // 000000003150: E0501080 800AEA04
	buffer_load_dword v235, v4, s[40:43], 0 offen offset:192   // 000000003158: E05010C0 800AEB04
	buffer_load_dword v236, v4, s[40:43], 0 offen offset:256   // 000000003160: E0501100 800AEC04
	buffer_load_dword v237, v4, s[40:43], 0 offen offset:320   // 000000003168: E0501140 800AED04
	buffer_load_dword v238, v4, s[40:43], 0 offen offset:384   // 000000003170: E0501180 800AEE04
	buffer_load_dword v239, v4, s[40:43], 0 offen offset:448   // 000000003178: E05011C0 800AEF04
	buffer_load_dword v240, v4, s[40:43], 0 offen offset:512   // 000000003180: E0501200 800AF004
	v_lshrrev_b32_e32 v4, 5, v0                                // 000000003188: 20080085
	v_xor_b32_e32 v5, 1, v4                                    // 00000000318C: 2A0A0881
	v_readlane_b32 s82, v3, 0                                  // 000000003190: D2890052 00010103
	s_and_b32 s82, s82, 0xffffff                               // 000000003198: 8652FF52 00FFFFFF
	v_mul_lo_u32 v6, v5, s82                                   // 0000000031A0: D2850006 0000A505
	v_readlane_b32 s82, v3, 1                                  // 0000000031A8: D2890052 00010303
	s_and_b32 s82, s82, 0xffffff                               // 0000000031B0: 8652FF52 00FFFFFF
	v_mul_lo_u32 v7, v4, s82                                   // 0000000031B8: D2850007 0000A504
	v_add_u32_e32 v66, v6, v7                                  // 0000000031C0: 68840F06
	v_mul_lo_u32 v66, v66, s68                                 // 0000000031C4: D2850042 00008942
	v_readlane_b32 s82, v3, 2                                  // 0000000031CC: D2890052 00010503
	s_and_b32 s82, s82, 0xffffff                               // 0000000031D4: 8652FF52 00FFFFFF
	v_mul_lo_u32 v6, v5, s82                                   // 0000000031DC: D2850006 0000A505
	v_readlane_b32 s82, v3, 3                                  // 0000000031E4: D2890052 00010703
	s_and_b32 s82, s82, 0xffffff                               // 0000000031EC: 8652FF52 00FFFFFF
	v_mul_lo_u32 v7, v4, s82                                   // 0000000031F4: D2850007 0000A504
	v_add_u32_e32 v67, v6, v7                                  // 0000000031FC: 68860F06
	v_mul_lo_u32 v67, v67, s68                                 // 000000003200: D2850043 00008943
	v_readlane_b32 s82, v3, 4                                  // 000000003208: D2890052 00010903
	s_and_b32 s82, s82, 0xffffff                               // 000000003210: 8652FF52 00FFFFFF
	v_mul_lo_u32 v6, v5, s82                                   // 000000003218: D2850006 0000A505
	v_readlane_b32 s82, v3, 5                                  // 000000003220: D2890052 00010B03
	s_and_b32 s82, s82, 0xffffff                               // 000000003228: 8652FF52 00FFFFFF
	v_mul_lo_u32 v7, v4, s82                                   // 000000003230: D2850007 0000A504
	v_add_u32_e32 v68, v6, v7                                  // 000000003238: 68880F06
	v_mul_lo_u32 v68, v68, s68                                 // 00000000323C: D2850044 00008944
	v_readlane_b32 s82, v3, 6                                  // 000000003244: D2890052 00010D03
	s_and_b32 s82, s82, 0xffffff                               // 00000000324C: 8652FF52 00FFFFFF
	v_mul_lo_u32 v6, v5, s82                                   // 000000003254: D2850006 0000A505
	v_readlane_b32 s82, v3, 7                                  // 00000000325C: D2890052 00010F03
	s_and_b32 s82, s82, 0xffffff                               // 000000003264: 8652FF52 00FFFFFF
	v_mul_lo_u32 v7, v4, s82                                   // 00000000326C: D2850007 0000A504
	v_add_u32_e32 v69, v6, v7                                  // 000000003274: 688A0F06
	v_mul_lo_u32 v69, v69, s68                                 // 000000003278: D2850045 00008945
	v_readlane_b32 s82, v3, 8                                  // 000000003280: D2890052 00011103
	s_and_b32 s82, s82, 0xffffff                               // 000000003288: 8652FF52 00FFFFFF
	v_mul_lo_u32 v6, v5, s82                                   // 000000003290: D2850006 0000A505
	v_readlane_b32 s82, v3, 9                                  // 000000003298: D2890052 00011303
	s_and_b32 s82, s82, 0xffffff                               // 0000000032A0: 8652FF52 00FFFFFF
	v_mul_lo_u32 v7, v4, s82                                   // 0000000032A8: D2850007 0000A504
	v_add_u32_e32 v70, v6, v7                                  // 0000000032B0: 688C0F06
	v_mul_lo_u32 v70, v70, s68                                 // 0000000032B4: D2850046 00008946
	v_readlane_b32 s82, v3, 10                                 // 0000000032BC: D2890052 00011503
	s_and_b32 s82, s82, 0xffffff                               // 0000000032C4: 8652FF52 00FFFFFF
	v_mul_lo_u32 v6, v5, s82                                   // 0000000032CC: D2850006 0000A505
	v_readlane_b32 s82, v3, 11                                 // 0000000032D4: D2890052 00011703
	s_and_b32 s82, s82, 0xffffff                               // 0000000032DC: 8652FF52 00FFFFFF
	v_mul_lo_u32 v7, v4, s82                                   // 0000000032E4: D2850007 0000A504
	v_add_u32_e32 v71, v6, v7                                  // 0000000032EC: 688E0F06
	v_mul_lo_u32 v71, v71, s68                                 // 0000000032F0: D2850047 00008947
	v_readlane_b32 s82, v3, 12                                 // 0000000032F8: D2890052 00011903
	s_and_b32 s82, s82, 0xffffff                               // 000000003300: 8652FF52 00FFFFFF
	v_mul_lo_u32 v6, v5, s82                                   // 000000003308: D2850006 0000A505
	v_readlane_b32 s82, v3, 13                                 // 000000003310: D2890052 00011B03
	s_and_b32 s82, s82, 0xffffff                               // 000000003318: 8652FF52 00FFFFFF
	v_mul_lo_u32 v7, v4, s82                                   // 000000003320: D2850007 0000A504
	v_add_u32_e32 v72, v6, v7                                  // 000000003328: 68900F06
	v_mul_lo_u32 v72, v72, s68                                 // 00000000332C: D2850048 00008948
	v_readlane_b32 s82, v3, 14                                 // 000000003334: D2890052 00011D03
	s_and_b32 s82, s82, 0xffffff                               // 00000000333C: 8652FF52 00FFFFFF
	v_mul_lo_u32 v6, v5, s82                                   // 000000003344: D2850006 0000A505
	v_readlane_b32 s82, v3, 15                                 // 00000000334C: D2890052 00011F03
	s_and_b32 s82, s82, 0xffffff                               // 000000003354: 8652FF52 00FFFFFF
	v_mul_lo_u32 v7, v4, s82                                   // 00000000335C: D2850007 0000A504
	v_add_u32_e32 v73, v6, v7                                  // 000000003364: 68920F06
	v_mul_lo_u32 v73, v73, s68                                 // 000000003368: D2850049 00008949
	v_readlane_b32 s82, v3, 16                                 // 000000003370: D2890052 00012103
	s_and_b32 s82, s82, 0xffffff                               // 000000003378: 8652FF52 00FFFFFF
	v_mul_lo_u32 v6, v5, s82                                   // 000000003380: D2850006 0000A505
	v_readlane_b32 s82, v3, 17                                 // 000000003388: D2890052 00012303
	s_and_b32 s82, s82, 0xffffff                               // 000000003390: 8652FF52 00FFFFFF
	v_mul_lo_u32 v7, v4, s82                                   // 000000003398: D2850007 0000A504
	v_add_u32_e32 v74, v6, v7                                  // 0000000033A0: 68940F06
	v_mul_lo_u32 v74, v74, s68                                 // 0000000033A4: D285004A 0000894A
	v_readlane_b32 s82, v3, 18                                 // 0000000033AC: D2890052 00012503
	s_and_b32 s82, s82, 0xffffff                               // 0000000033B4: 8652FF52 00FFFFFF
	v_mul_lo_u32 v6, v5, s82                                   // 0000000033BC: D2850006 0000A505
	v_readlane_b32 s82, v3, 19                                 // 0000000033C4: D2890052 00012703
	s_and_b32 s82, s82, 0xffffff                               // 0000000033CC: 8652FF52 00FFFFFF
	v_mul_lo_u32 v7, v4, s82                                   // 0000000033D4: D2850007 0000A504
	v_add_u32_e32 v75, v6, v7                                  // 0000000033DC: 68960F06
	v_mul_lo_u32 v75, v75, s68                                 // 0000000033E0: D285004B 0000894B
	v_readlane_b32 s82, v3, 20                                 // 0000000033E8: D2890052 00012903
	s_and_b32 s82, s82, 0xffffff                               // 0000000033F0: 8652FF52 00FFFFFF
	v_mul_lo_u32 v6, v5, s82                                   // 0000000033F8: D2850006 0000A505
	v_readlane_b32 s82, v3, 21                                 // 000000003400: D2890052 00012B03
	s_and_b32 s82, s82, 0xffffff                               // 000000003408: 8652FF52 00FFFFFF
	v_mul_lo_u32 v7, v4, s82                                   // 000000003410: D2850007 0000A504
	v_add_u32_e32 v76, v6, v7                                  // 000000003418: 68980F06
	v_mul_lo_u32 v76, v76, s68                                 // 00000000341C: D285004C 0000894C
	v_readlane_b32 s82, v3, 22                                 // 000000003424: D2890052 00012D03
	s_and_b32 s82, s82, 0xffffff                               // 00000000342C: 8652FF52 00FFFFFF
	v_mul_lo_u32 v6, v5, s82                                   // 000000003434: D2850006 0000A505
	v_readlane_b32 s82, v3, 23                                 // 00000000343C: D2890052 00012F03
	s_and_b32 s82, s82, 0xffffff                               // 000000003444: 8652FF52 00FFFFFF
	v_mul_lo_u32 v7, v4, s82                                   // 00000000344C: D2850007 0000A504
	v_add_u32_e32 v77, v6, v7                                  // 000000003454: 689A0F06
	v_mul_lo_u32 v77, v77, s68                                 // 000000003458: D285004D 0000894D
	v_readlane_b32 s82, v3, 24                                 // 000000003460: D2890052 00013103
	s_and_b32 s82, s82, 0xffffff                               // 000000003468: 8652FF52 00FFFFFF
	v_mul_lo_u32 v6, v5, s82                                   // 000000003470: D2850006 0000A505
	v_readlane_b32 s82, v3, 25                                 // 000000003478: D2890052 00013303
	s_and_b32 s82, s82, 0xffffff                               // 000000003480: 8652FF52 00FFFFFF
	v_mul_lo_u32 v7, v4, s82                                   // 000000003488: D2850007 0000A504
	v_add_u32_e32 v78, v6, v7                                  // 000000003490: 689C0F06
	v_mul_lo_u32 v78, v78, s68                                 // 000000003494: D285004E 0000894E
	v_readlane_b32 s82, v3, 26                                 // 00000000349C: D2890052 00013503
	s_and_b32 s82, s82, 0xffffff                               // 0000000034A4: 8652FF52 00FFFFFF
	v_mul_lo_u32 v6, v5, s82                                   // 0000000034AC: D2850006 0000A505
	v_readlane_b32 s82, v3, 27                                 // 0000000034B4: D2890052 00013703
	s_and_b32 s82, s82, 0xffffff                               // 0000000034BC: 8652FF52 00FFFFFF
	v_mul_lo_u32 v7, v4, s82                                   // 0000000034C4: D2850007 0000A504
	v_add_u32_e32 v79, v6, v7                                  // 0000000034CC: 689E0F06
	v_mul_lo_u32 v79, v79, s68                                 // 0000000034D0: D285004F 0000894F
	v_readlane_b32 s82, v3, 28                                 // 0000000034D8: D2890052 00013903
	s_and_b32 s82, s82, 0xffffff                               // 0000000034E0: 8652FF52 00FFFFFF
	v_mul_lo_u32 v6, v5, s82                                   // 0000000034E8: D2850006 0000A505
	v_readlane_b32 s82, v3, 29                                 // 0000000034F0: D2890052 00013B03
	s_and_b32 s82, s82, 0xffffff                               // 0000000034F8: 8652FF52 00FFFFFF
	v_mul_lo_u32 v7, v4, s82                                   // 000000003500: D2850007 0000A504
	v_add_u32_e32 v80, v6, v7                                  // 000000003508: 68A00F06
	v_mul_lo_u32 v80, v80, s68                                 // 00000000350C: D2850050 00008950
	v_readlane_b32 s82, v3, 30                                 // 000000003514: D2890052 00013D03
	s_and_b32 s82, s82, 0xffffff                               // 00000000351C: 8652FF52 00FFFFFF
	v_mul_lo_u32 v6, v5, s82                                   // 000000003524: D2850006 0000A505
	v_readlane_b32 s82, v3, 31                                 // 00000000352C: D2890052 00013F03
	s_and_b32 s82, s82, 0xffffff                               // 000000003534: 8652FF52 00FFFFFF
	v_mul_lo_u32 v7, v4, s82                                   // 00000000353C: D2850007 0000A504
	v_add_u32_e32 v81, v6, v7                                  // 000000003544: 68A20F06
	v_mul_lo_u32 v81, v81, s68                                 // 000000003548: D2850051 00008951
	v_readlane_b32 s82, v3, 32                                 // 000000003550: D2890052 00014103
	s_and_b32 s82, s82, 0xffffff                               // 000000003558: 8652FF52 00FFFFFF
	v_mul_lo_u32 v6, v5, s82                                   // 000000003560: D2850006 0000A505
	v_readlane_b32 s82, v3, 33                                 // 000000003568: D2890052 00014303
	s_and_b32 s82, s82, 0xffffff                               // 000000003570: 8652FF52 00FFFFFF
	v_mul_lo_u32 v7, v4, s82                                   // 000000003578: D2850007 0000A504
	v_add_u32_e32 v82, v6, v7                                  // 000000003580: 68A40F06
	v_mul_lo_u32 v82, v82, s68                                 // 000000003584: D2850052 00008952
	v_readlane_b32 s82, v3, 34                                 // 00000000358C: D2890052 00014503
	s_and_b32 s82, s82, 0xffffff                               // 000000003594: 8652FF52 00FFFFFF
	v_mul_lo_u32 v6, v5, s82                                   // 00000000359C: D2850006 0000A505
	v_readlane_b32 s82, v3, 35                                 // 0000000035A4: D2890052 00014703
	s_and_b32 s82, s82, 0xffffff                               // 0000000035AC: 8652FF52 00FFFFFF
	v_mul_lo_u32 v7, v4, s82                                   // 0000000035B4: D2850007 0000A504
	v_add_u32_e32 v83, v6, v7                                  // 0000000035BC: 68A60F06
	v_mul_lo_u32 v83, v83, s68                                 // 0000000035C0: D2850053 00008953
	v_and_b32_e32 v4, 31, v0                                   // 0000000035C8: 2608009F
	v_lshlrev_b32_e32 v4, 2, v4                                // 0000000035CC: 24080882
	v_add_u32_e32 v66, v66, v4                                 // 0000000035D0: 68840942
	v_add_u32_e32 v67, v67, v4                                 // 0000000035D4: 68860943
	v_add_u32_e32 v68, v68, v4                                 // 0000000035D8: 68880944
	v_add_u32_e32 v69, v69, v4                                 // 0000000035DC: 688A0945
	v_add_u32_e32 v70, v70, v4                                 // 0000000035E0: 688C0946
	v_add_u32_e32 v71, v71, v4                                 // 0000000035E4: 688E0947
	v_add_u32_e32 v72, v72, v4                                 // 0000000035E8: 68900948
	v_add_u32_e32 v73, v73, v4                                 // 0000000035EC: 68920949
	v_add_u32_e32 v74, v74, v4                                 // 0000000035F0: 6894094A
	v_add_u32_e32 v75, v75, v4                                 // 0000000035F4: 6896094B
	v_add_u32_e32 v76, v76, v4                                 // 0000000035F8: 6898094C
	v_add_u32_e32 v77, v77, v4                                 // 0000000035FC: 689A094D
	v_add_u32_e32 v78, v78, v4                                 // 000000003600: 689C094E
	v_add_u32_e32 v79, v79, v4                                 // 000000003604: 689E094F
	v_add_u32_e32 v80, v80, v4                                 // 000000003608: 68A00950
	v_add_u32_e32 v81, v81, v4                                 // 00000000360C: 68A20951
	v_add_u32_e32 v82, v82, v4                                 // 000000003610: 68A40952
	v_add_u32_e32 v83, v83, v4                                 // 000000003614: 68A60953
	v_and_b32_e32 v30, 0xffffff, v30                           // 000000003618: 263C3CFF 00FFFFFF
	v_lshlrev_b32_e32 v30, 2, v30                              // 000000003620: 243C3C82
	v_and_b32_e32 v31, 0xffffff, v31                           // 000000003624: 263E3EFF 00FFFFFF
	v_lshlrev_b32_e32 v31, 2, v31                              // 00000000362C: 243E3E82
	v_and_b32_e32 v32, 0xffffff, v32                           // 000000003630: 264040FF 00FFFFFF
	v_lshlrev_b32_e32 v32, 2, v32                              // 000000003638: 24404082
	v_and_b32_e32 v33, 0xffffff, v33                           // 00000000363C: 264242FF 00FFFFFF
	v_lshlrev_b32_e32 v33, 2, v33                              // 000000003644: 24424282
	v_and_b32_e32 v34, 0xffffff, v34                           // 000000003648: 264444FF 00FFFFFF
	v_lshlrev_b32_e32 v34, 2, v34                              // 000000003650: 24444482
	v_and_b32_e32 v35, 0xffffff, v35                           // 000000003654: 264646FF 00FFFFFF
	v_lshlrev_b32_e32 v35, 2, v35                              // 00000000365C: 24464682
	v_and_b32_e32 v36, 0xffffff, v36                           // 000000003660: 264848FF 00FFFFFF
	v_lshlrev_b32_e32 v36, 2, v36                              // 000000003668: 24484882
	v_and_b32_e32 v37, 0xffffff, v37                           // 00000000366C: 264A4AFF 00FFFFFF
	v_lshlrev_b32_e32 v37, 2, v37                              // 000000003674: 244A4A82
	v_and_b32_e32 v38, 0xffffff, v38                           // 000000003678: 264C4CFF 00FFFFFF
	v_lshlrev_b32_e32 v38, 2, v38                              // 000000003680: 244C4C82
	s_lshl_b32 s3, s66, 2                                      // 000000003684: 8E038242
	buffer_load_dword v39, v30, s[28:31], 0 offen              // 000000003688: E0501000 8007271E
	buffer_load_dword v40, v31, s[28:31], 0 offen              // 000000003690: E0501000 8007281F
	buffer_load_dword v41, v32, s[28:31], 0 offen              // 000000003698: E0501000 80072920
	buffer_load_dword v42, v33, s[28:31], 0 offen              // 0000000036A0: E0501000 80072A21
	buffer_load_dword v43, v34, s[28:31], 0 offen              // 0000000036A8: E0501000 80072B22
	buffer_load_dword v44, v35, s[28:31], 0 offen              // 0000000036B0: E0501000 80072C23
	buffer_load_dword v45, v36, s[28:31], 0 offen              // 0000000036B8: E0501000 80072D24
	buffer_load_dword v46, v37, s[28:31], 0 offen              // 0000000036C0: E0501000 80072E25
	buffer_load_dword v47, v38, s[28:31], 0 offen              // 0000000036C8: E0501000 80072F26
	buffer_load_dword v24, v22, s[32:35], 0 offen              // 0000000036D0: E0501000 80081816
	s_mul_i32 s60, 4, s65                                      // 0000000036D8: 923C4184
	s_add_u32 s32, s60, s32                                    // 0000000036DC: 8020203C
	s_addc_u32 s33, 0, s33                                     // 0000000036E0: 82212180
	buffer_load_dword v27, v22, s[32:35], 0 offen              // 0000000036E4: E0501000 80081B16
	buffer_load_dword v66, s[20:23], 0 offen lds               // 0000000036EC: E0511000 80050042
	s_add_u32 m0, 0x100, s48                                   // 0000000036F4: 807C30FF 00000100
	buffer_load_dword v67, s[20:23], 0 offen lds               // 0000000036FC: E0511000 80050043
	s_add_u32 m0, 0x200, s48                                   // 000000003704: 807C30FF 00000200
	buffer_load_dword v68, s[20:23], 0 offen lds               // 00000000370C: E0511000 80050044
	s_add_u32 m0, 0x300, s48                                   // 000000003714: 807C30FF 00000300
	buffer_load_dword v69, s[20:23], 0 offen lds               // 00000000371C: E0511000 80050045
	s_add_u32 m0, 0x400, s48                                   // 000000003724: 807C30FF 00000400
	buffer_load_dword v70, s[20:23], 0 offen lds               // 00000000372C: E0511000 80050046
	s_add_u32 m0, 0x500, s48                                   // 000000003734: 807C30FF 00000500
	buffer_load_dword v71, s[20:23], 0 offen lds               // 00000000373C: E0511000 80050047
	s_add_u32 m0, 0x600, s48                                   // 000000003744: 807C30FF 00000600
	buffer_load_dword v72, s[20:23], 0 offen lds               // 00000000374C: E0511000 80050048
	s_add_u32 m0, 0x700, s48                                   // 000000003754: 807C30FF 00000700
	buffer_load_dword v73, s[20:23], 0 offen lds               // 00000000375C: E0511000 80050049
	s_add_u32 m0, 0x800, s48                                   // 000000003764: 807C30FF 00000800
	buffer_load_dword v74, s[20:23], 0 offen lds               // 00000000376C: E0511000 8005004A
	s_add_u32 m0, 0x900, s48                                   // 000000003774: 807C30FF 00000900
	buffer_load_dword v75, s[20:23], 0 offen lds               // 00000000377C: E0511000 8005004B
	s_add_u32 m0, 0xa00, s48                                   // 000000003784: 807C30FF 00000A00
	buffer_load_dword v76, s[20:23], 0 offen lds               // 00000000378C: E0511000 8005004C
	s_add_u32 m0, 0xb00, s48                                   // 000000003794: 807C30FF 00000B00
	buffer_load_dword v77, s[20:23], 0 offen lds               // 00000000379C: E0511000 8005004D
	s_add_u32 m0, 0xc00, s48                                   // 0000000037A4: 807C30FF 00000C00
	buffer_load_dword v78, s[20:23], 0 offen lds               // 0000000037AC: E0511000 8005004E
	s_add_u32 m0, 0xd00, s48                                   // 0000000037B4: 807C30FF 00000D00
	buffer_load_dword v79, s[20:23], 0 offen lds               // 0000000037BC: E0511000 8005004F
	s_add_u32 m0, 0xe00, s48                                   // 0000000037C4: 807C30FF 00000E00
	buffer_load_dword v80, s[20:23], 0 offen lds               // 0000000037CC: E0511000 80050050
	s_add_u32 m0, 0xf00, s48                                   // 0000000037D4: 807C30FF 00000F00
	buffer_load_dword v81, s[20:23], 0 offen lds               // 0000000037DC: E0511000 80050051
	s_add_u32 m0, 0x1000, s48                                  // 0000000037E4: 807C30FF 00001000
	buffer_load_dword v82, s[20:23], 0 offen lds               // 0000000037EC: E0511000 80050052
	s_add_u32 m0, 0x1100, s48                                  // 0000000037F4: 807C30FF 00001100
	buffer_load_dword v83, s[20:23], 0 offen lds               // 0000000037FC: E0511000 80050053
	s_add_u32 m0, 0, s49                                       // 000000003804: 807C3180
	s_add_u32 s20, s57, s20                                    // 000000003808: 80141439
	s_addc_u32 s21, 0, s21                                     // 00000000380C: 82151580
	buffer_load_dwordx4 a[144:147], v84, s[24:27], 0 offen     // 000000003810: E05C1000 80869054
	buffer_load_dwordx4 a[148:151], v84, s[24:27], 0 offen offset:1024// 000000003818: E05C1400 80869454
	buffer_load_dwordx4 a[152:155], v85, s[24:27], 0 offen     // 000000003820: E05C1000 80869855
	buffer_load_dwordx4 a[156:159], v85, s[24:27], 0 offen offset:1024// 000000003828: E05C1400 80869C55
	s_add_u32 s24, s58, s24                                    // 000000003830: 8018183A
	s_addc_u32 s25, 0, s25                                     // 000000003834: 82191980
	buffer_load_dword v66, s[20:23], 0 offen lds               // 000000003838: E0511000 80050042
	s_add_u32 m0, 0x100, s49                                   // 000000003840: 807C31FF 00000100
	buffer_load_dword v67, s[20:23], 0 offen lds               // 000000003848: E0511000 80050043
	s_add_u32 m0, 0x200, s49                                   // 000000003850: 807C31FF 00000200
	;; [unrolled: 2-line block ×6, first 2 shown]
	buffer_load_dword v72, s[20:23], 0 offen lds               // 000000003898: E0511000 80050048
	s_add_u32 m0, 0x700, s49                                   // 0000000038A0: 807C31FF 00000700
	buffer_load_dword v73, s[20:23], 0 offen lds               // 0000000038A8: E0511000 80050049
	s_add_u32 m0, 0x800, s49                                   // 0000000038B0: 807C31FF 00000800
	buffer_load_dword v74, s[20:23], 0 offen lds               // 0000000038B8: E0511000 8005004A
	s_add_u32 m0, 0x900, s49                                   // 0000000038C0: 807C31FF 00000900
	buffer_load_dword v75, s[20:23], 0 offen lds               // 0000000038C8: E0511000 8005004B
	s_add_u32 m0, 0xa00, s49                                   // 0000000038D0: 807C31FF 00000A00
	buffer_load_dword v76, s[20:23], 0 offen lds               // 0000000038D8: E0511000 8005004C
	s_add_u32 m0, 0xb00, s49                                   // 0000000038E0: 807C31FF 00000B00
	buffer_load_dword v77, s[20:23], 0 offen lds               // 0000000038E8: E0511000 8005004D
	s_add_u32 m0, 0xc00, s49                                   // 0000000038F0: 807C31FF 00000C00
	buffer_load_dword v78, s[20:23], 0 offen lds               // 0000000038F8: E0511000 8005004E
	s_add_u32 m0, 0xd00, s49                                   // 000000003900: 807C31FF 00000D00
	buffer_load_dword v79, s[20:23], 0 offen lds               // 000000003908: E0511000 8005004F
	s_add_u32 m0, 0xe00, s49                                   // 000000003910: 807C31FF 00000E00
	buffer_load_dword v80, s[20:23], 0 offen lds               // 000000003918: E0511000 80050050
	s_add_u32 m0, 0xf00, s49                                   // 000000003920: 807C31FF 00000F00
	buffer_load_dword v81, s[20:23], 0 offen lds               // 000000003928: E0511000 80050051
	s_add_u32 m0, 0x1000, s49                                  // 000000003930: 807C31FF 00001000
	buffer_load_dword v82, s[20:23], 0 offen lds               // 000000003938: E0511000 80050052
	s_add_u32 m0, 0x1100, s49                                  // 000000003940: 807C31FF 00001100
	buffer_load_dword v83, s[20:23], 0 offen lds               // 000000003948: E0511000 80050053
	s_add_u32 m0, 0, s50                                       // 000000003950: 807C3280
	s_add_u32 s20, s57, s20                                    // 000000003954: 80141439
	s_addc_u32 s21, 0, s21                                     // 000000003958: 82151580
	buffer_load_dwordx4 a[160:163], v84, s[84:87], 0 offen     // 00000000395C: E05C1000 8095A054
	buffer_load_dwordx4 a[164:167], v84, s[84:87], 0 offen offset:1024// 000000003964: E05C1400 8095A454
	buffer_load_dwordx4 a[168:171], v85, s[84:87], 0 offen     // 00000000396C: E05C1000 8095A855
	buffer_load_dwordx4 a[172:175], v85, s[84:87], 0 offen offset:1024// 000000003974: E05C1400 8095AC55
	s_add_u32 s84, s83, s84                                    // 00000000397C: 80545453
	s_addc_u32 s85, 0, s85                                     // 000000003980: 82555580
	s_waitcnt vmcnt(26)                                        // 000000003984: BF8C4F7A
	s_barrier                                                  // 000000003988: BF8A0000
	ds_read_b128 a[0:3], v2                                    // 00000000398C: DBFE0000 00000002
	ds_read_b128 a[4:7], v2 offset:64                          // 000000003994: DBFE0040 04000002
	ds_read_b128 a[8:11], v2 offset:512                        // 00000000399C: DBFE0200 08000002
	ds_read_b128 a[12:15], v2 offset:576                       // 0000000039A4: DBFE0240 0C000002
	ds_read_b128 a[16:19], v2 offset:1024                      // 0000000039AC: DBFE0400 10000002
	ds_read_b128 a[20:23], v2 offset:1088                      // 0000000039B4: DBFE0440 14000002
	ds_read_b128 a[24:27], v2 offset:1536                      // 0000000039BC: DBFE0600 18000002
	ds_read_b128 a[28:31], v2 offset:1600                      // 0000000039C4: DBFE0640 1C000002
	ds_read_b128 a[32:35], v2 offset:2048                      // 0000000039CC: DBFE0800 20000002
	ds_read_b128 a[36:39], v2 offset:2112                      // 0000000039D4: DBFE0840 24000002
	ds_read_b128 a[40:43], v2 offset:2560                      // 0000000039DC: DBFE0A00 28000002
	ds_read_b128 a[44:47], v2 offset:2624                      // 0000000039E4: DBFE0A40 2C000002
	ds_read_b128 a[48:51], v2 offset:3072                      // 0000000039EC: DBFE0C00 30000002
	ds_read_b128 a[52:55], v2 offset:3136                      // 0000000039F4: DBFE0C40 34000002
	ds_read_b128 a[56:59], v2 offset:3584                      // 0000000039FC: DBFE0E00 38000002
	ds_read_b128 a[60:63], v2 offset:3648                      // 000000003A04: DBFE0E40 3C000002
	ds_read_b128 a[64:67], v2 offset:4096                      // 000000003A0C: DBFE1000 40000002
	ds_read_b128 a[68:71], v2 offset:4160                      // 000000003A14: DBFE1040 44000002
	s_cmp_lt_i32 s7, 2                                         // 000000003A1C: BF048207
	s_cbranch_scc0 label_239B                                  // 000000003A20: BF841F8F

0000000000003a24 <label_0409>:
	s_waitcnt vmcnt(22) lgkmcnt(0)                             // 000000003A24: BF8C4076
	v_mfma_f32_16x16x32_fp8_fp8 v[88:91], a[144:145], a[0:1], v[88:91]// 000000003A28: D3F30058 1D620190
	v_mfma_f32_16x16x32_fp8_fp8 v[88:91], a[146:147], a[2:3], v[88:91]// 000000003A30: D3F30058 1D620592
	buffer_load_dwordx4 a[176:179], v84, s[24:27], 0 offen     // 000000003A38: E05C1000 8086B054
	v_mfma_f32_16x16x32_fp8_fp8 v[88:91], a[148:149], a[4:5], v[88:91]// 000000003A40: D3F30058 1D620994
	v_mfma_f32_16x16x32_fp8_fp8 v[88:91], a[150:151], a[6:7], v[88:91]// 000000003A48: D3F30058 1D620D96
	v_mfma_f32_16x16x32_fp8_fp8 v[124:127], a[152:153], a[0:1], v[124:127]// 000000003A50: D3F3007C 1DF20198
	v_mfma_f32_16x16x32_fp8_fp8 v[124:127], a[154:155], a[2:3], v[124:127]// 000000003A58: D3F3007C 1DF2059A
	buffer_load_dwordx4 a[180:183], v84, s[24:27], 0 offen offset:1024// 000000003A60: E05C1400 8086B454
	v_mfma_f32_16x16x32_fp8_fp8 v[124:127], a[156:157], a[4:5], v[124:127]// 000000003A68: D3F3007C 1DF2099C
	v_mfma_f32_16x16x32_fp8_fp8 v[124:127], a[158:159], a[6:7], v[124:127]// 000000003A70: D3F3007C 1DF20D9E
	v_mfma_f32_16x16x32_fp8_fp8 v[92:95], a[144:145], a[8:9], v[92:95]// 000000003A78: D3F3005C 1D721190
	v_mfma_f32_16x16x32_fp8_fp8 v[92:95], a[146:147], a[10:11], v[92:95]// 000000003A80: D3F3005C 1D721592
	buffer_load_dwordx4 a[184:187], v85, s[24:27], 0 offen     // 000000003A88: E05C1000 8086B855
	v_mfma_f32_16x16x32_fp8_fp8 v[92:95], a[148:149], a[12:13], v[92:95]// 000000003A90: D3F3005C 1D721994
	v_mfma_f32_16x16x32_fp8_fp8 v[92:95], a[150:151], a[14:15], v[92:95]// 000000003A98: D3F3005C 1D721D96
	v_mfma_f32_16x16x32_fp8_fp8 v[128:131], a[152:153], a[8:9], v[128:131]// 000000003AA0: D3F30080 1E021198
	v_mfma_f32_16x16x32_fp8_fp8 v[128:131], a[154:155], a[10:11], v[128:131]// 000000003AA8: D3F30080 1E02159A
	buffer_load_dwordx4 a[188:191], v85, s[24:27], 0 offen offset:1024// 000000003AB0: E05C1400 8086BC55
	buffer_load_dword v66, s[20:23], 0 offen lds               // 000000003AB8: E0511000 80050042
	s_add_u32 m0, 0x100, s50                                   // 000000003AC0: 807C32FF 00000100
	v_mfma_f32_16x16x32_fp8_fp8 v[128:131], a[156:157], a[12:13], v[128:131]// 000000003AC8: D3F30080 1E02199C
	v_mfma_f32_16x16x32_fp8_fp8 v[128:131], a[158:159], a[14:15], v[128:131]// 000000003AD0: D3F30080 1E021D9E
	buffer_load_dword v67, s[20:23], 0 offen lds               // 000000003AD8: E0511000 80050043
	s_add_u32 m0, 0x200, s50                                   // 000000003AE0: 807C32FF 00000200
	v_mfma_f32_16x16x32_fp8_fp8 v[96:99], a[144:145], a[16:17], v[96:99]// 000000003AE8: D3F30060 1D822190
	v_mfma_f32_16x16x32_fp8_fp8 v[96:99], a[146:147], a[18:19], v[96:99]// 000000003AF0: D3F30060 1D822592
	buffer_load_dword v68, s[20:23], 0 offen lds               // 000000003AF8: E0511000 80050044
	s_add_u32 m0, 0x300, s50                                   // 000000003B00: 807C32FF 00000300
	v_mfma_f32_16x16x32_fp8_fp8 v[96:99], a[148:149], a[20:21], v[96:99]// 000000003B08: D3F30060 1D822994
	v_mfma_f32_16x16x32_fp8_fp8 v[96:99], a[150:151], a[22:23], v[96:99]// 000000003B10: D3F30060 1D822D96
	buffer_load_dword v69, s[20:23], 0 offen lds               // 000000003B18: E0511000 80050045
	s_add_u32 m0, 0x400, s50                                   // 000000003B20: 807C32FF 00000400
	v_mfma_f32_16x16x32_fp8_fp8 v[132:135], a[152:153], a[16:17], v[132:135]// 000000003B28: D3F30084 1E122198
	v_mfma_f32_16x16x32_fp8_fp8 v[132:135], a[154:155], a[18:19], v[132:135]// 000000003B30: D3F30084 1E12259A
	buffer_load_dword v70, s[20:23], 0 offen lds               // 000000003B38: E0511000 80050046
	s_add_u32 m0, 0x500, s50                                   // 000000003B40: 807C32FF 00000500
	v_mfma_f32_16x16x32_fp8_fp8 v[132:135], a[156:157], a[20:21], v[132:135]// 000000003B48: D3F30084 1E12299C
	v_mfma_f32_16x16x32_fp8_fp8 v[132:135], a[158:159], a[22:23], v[132:135]// 000000003B50: D3F30084 1E122D9E
	buffer_load_dword v71, s[20:23], 0 offen lds               // 000000003B58: E0511000 80050047
	s_add_u32 m0, 0x600, s50                                   // 000000003B60: 807C32FF 00000600
	v_mfma_f32_16x16x32_fp8_fp8 v[100:103], a[144:145], a[24:25], v[100:103]// 000000003B68: D3F30064 1D923190
	v_mfma_f32_16x16x32_fp8_fp8 v[100:103], a[146:147], a[26:27], v[100:103]// 000000003B70: D3F30064 1D923592
	buffer_load_dword v72, s[20:23], 0 offen lds               // 000000003B78: E0511000 80050048
	s_add_u32 m0, 0x700, s50                                   // 000000003B80: 807C32FF 00000700
	v_mfma_f32_16x16x32_fp8_fp8 v[100:103], a[148:149], a[28:29], v[100:103]// 000000003B88: D3F30064 1D923994
	v_mfma_f32_16x16x32_fp8_fp8 v[100:103], a[150:151], a[30:31], v[100:103]// 000000003B90: D3F30064 1D923D96
	buffer_load_dword v73, s[20:23], 0 offen lds               // 000000003B98: E0511000 80050049
	s_add_u32 m0, 0x800, s50                                   // 000000003BA0: 807C32FF 00000800
	v_mfma_f32_16x16x32_fp8_fp8 v[136:139], a[152:153], a[24:25], v[136:139]// 000000003BA8: D3F30088 1E223198
	v_mfma_f32_16x16x32_fp8_fp8 v[136:139], a[154:155], a[26:27], v[136:139]// 000000003BB0: D3F30088 1E22359A
	buffer_load_dword v74, s[20:23], 0 offen lds               // 000000003BB8: E0511000 8005004A
	s_add_u32 m0, 0x900, s50                                   // 000000003BC0: 807C32FF 00000900
	v_mfma_f32_16x16x32_fp8_fp8 v[136:139], a[156:157], a[28:29], v[136:139]// 000000003BC8: D3F30088 1E22399C
	v_mfma_f32_16x16x32_fp8_fp8 v[136:139], a[158:159], a[30:31], v[136:139]// 000000003BD0: D3F30088 1E223D9E
	buffer_load_dword v75, s[20:23], 0 offen lds               // 000000003BD8: E0511000 8005004B
	s_add_u32 m0, 0xa00, s50                                   // 000000003BE0: 807C32FF 00000A00
	v_mfma_f32_16x16x32_fp8_fp8 v[104:107], a[144:145], a[32:33], v[104:107]// 000000003BE8: D3F30068 1DA24190
	v_mfma_f32_16x16x32_fp8_fp8 v[104:107], a[146:147], a[34:35], v[104:107]// 000000003BF0: D3F30068 1DA24592
	buffer_load_dword v76, s[20:23], 0 offen lds               // 000000003BF8: E0511000 8005004C
	s_add_u32 m0, 0xb00, s50                                   // 000000003C00: 807C32FF 00000B00
	v_mfma_f32_16x16x32_fp8_fp8 v[104:107], a[148:149], a[36:37], v[104:107]// 000000003C08: D3F30068 1DA24994
	v_mfma_f32_16x16x32_fp8_fp8 v[104:107], a[150:151], a[38:39], v[104:107]// 000000003C10: D3F30068 1DA24D96
	buffer_load_dword v77, s[20:23], 0 offen lds               // 000000003C18: E0511000 8005004D
	s_add_u32 m0, 0xc00, s50                                   // 000000003C20: 807C32FF 00000C00
	v_mfma_f32_16x16x32_fp8_fp8 v[140:143], a[152:153], a[32:33], v[140:143]// 000000003C28: D3F3008C 1E324198
	v_mfma_f32_16x16x32_fp8_fp8 v[140:143], a[154:155], a[34:35], v[140:143]// 000000003C30: D3F3008C 1E32459A
	buffer_load_dword v78, s[20:23], 0 offen lds               // 000000003C38: E0511000 8005004E
	s_add_u32 m0, 0xd00, s50                                   // 000000003C40: 807C32FF 00000D00
	v_mfma_f32_16x16x32_fp8_fp8 v[140:143], a[156:157], a[36:37], v[140:143]// 000000003C48: D3F3008C 1E32499C
	v_mfma_f32_16x16x32_fp8_fp8 v[140:143], a[158:159], a[38:39], v[140:143]// 000000003C50: D3F3008C 1E324D9E
	buffer_load_dword v79, s[20:23], 0 offen lds               // 000000003C58: E0511000 8005004F
	s_add_u32 m0, 0xe00, s50                                   // 000000003C60: 807C32FF 00000E00
	v_mfma_f32_16x16x32_fp8_fp8 v[108:111], a[144:145], a[40:41], v[108:111]// 000000003C68: D3F3006C 1DB25190
	v_mfma_f32_16x16x32_fp8_fp8 v[108:111], a[146:147], a[42:43], v[108:111]// 000000003C70: D3F3006C 1DB25592
	buffer_load_dword v80, s[20:23], 0 offen lds               // 000000003C78: E0511000 80050050
	s_add_u32 m0, 0xf00, s50                                   // 000000003C80: 807C32FF 00000F00
	v_mfma_f32_16x16x32_fp8_fp8 v[108:111], a[148:149], a[44:45], v[108:111]// 000000003C88: D3F3006C 1DB25994
	v_mfma_f32_16x16x32_fp8_fp8 v[108:111], a[150:151], a[46:47], v[108:111]// 000000003C90: D3F3006C 1DB25D96
	buffer_load_dword v81, s[20:23], 0 offen lds               // 000000003C98: E0511000 80050051
	s_add_u32 m0, 0x1000, s50                                  // 000000003CA0: 807C32FF 00001000
	v_mfma_f32_16x16x32_fp8_fp8 v[144:147], a[152:153], a[40:41], v[144:147]// 000000003CA8: D3F30090 1E425198
	v_mfma_f32_16x16x32_fp8_fp8 v[144:147], a[154:155], a[42:43], v[144:147]// 000000003CB0: D3F30090 1E42559A
	buffer_load_dword v82, s[20:23], 0 offen lds               // 000000003CB8: E0511000 80050052
	s_add_u32 m0, 0x1100, s50                                  // 000000003CC0: 807C32FF 00001100
	v_mfma_f32_16x16x32_fp8_fp8 v[144:147], a[156:157], a[44:45], v[144:147]// 000000003CC8: D3F30090 1E42599C
	v_mfma_f32_16x16x32_fp8_fp8 v[144:147], a[158:159], a[46:47], v[144:147]// 000000003CD0: D3F30090 1E425D9E
	buffer_load_dword v83, s[20:23], 0 offen lds               // 000000003CD8: E0511000 80050053
	s_add_u32 m0, 0, s48                                       // 000000003CE0: 807C3080
	v_mfma_f32_16x16x32_fp8_fp8 v[112:115], a[144:145], a[48:49], v[112:115]// 000000003CE4: D3F30070 1DC26190
	v_mfma_f32_16x16x32_fp8_fp8 v[112:115], a[146:147], a[50:51], v[112:115]// 000000003CEC: D3F30070 1DC26592
	v_mfma_f32_16x16x32_fp8_fp8 v[112:115], a[148:149], a[52:53], v[112:115]// 000000003CF4: D3F30070 1DC26994
	v_mfma_f32_16x16x32_fp8_fp8 v[112:115], a[150:151], a[54:55], v[112:115]// 000000003CFC: D3F30070 1DC26D96
	v_mfma_f32_16x16x32_fp8_fp8 v[148:151], a[152:153], a[48:49], v[148:151]// 000000003D04: D3F30094 1E526198
	v_mfma_f32_16x16x32_fp8_fp8 v[148:151], a[154:155], a[50:51], v[148:151]// 000000003D0C: D3F30094 1E52659A
	v_mfma_f32_16x16x32_fp8_fp8 v[148:151], a[156:157], a[52:53], v[148:151]// 000000003D14: D3F30094 1E52699C
	v_mfma_f32_16x16x32_fp8_fp8 v[148:151], a[158:159], a[54:55], v[148:151]// 000000003D1C: D3F30094 1E526D9E
	v_mfma_f32_16x16x32_fp8_fp8 v[116:119], a[144:145], a[56:57], v[116:119]// 000000003D24: D3F30074 1DD27190
	v_mfma_f32_16x16x32_fp8_fp8 v[116:119], a[146:147], a[58:59], v[116:119]// 000000003D2C: D3F30074 1DD27592
	v_mfma_f32_16x16x32_fp8_fp8 v[116:119], a[148:149], a[60:61], v[116:119]// 000000003D34: D3F30074 1DD27994
	v_mfma_f32_16x16x32_fp8_fp8 v[116:119], a[150:151], a[62:63], v[116:119]// 000000003D3C: D3F30074 1DD27D96
	v_mfma_f32_16x16x32_fp8_fp8 v[152:155], a[152:153], a[56:57], v[152:155]// 000000003D44: D3F30098 1E627198
	v_mfma_f32_16x16x32_fp8_fp8 v[152:155], a[154:155], a[58:59], v[152:155]// 000000003D4C: D3F30098 1E62759A
	v_mfma_f32_16x16x32_fp8_fp8 v[152:155], a[156:157], a[60:61], v[152:155]// 000000003D54: D3F30098 1E62799C
	v_mfma_f32_16x16x32_fp8_fp8 v[152:155], a[158:159], a[62:63], v[152:155]// 000000003D5C: D3F30098 1E627D9E
	v_mfma_f32_16x16x32_fp8_fp8 v[120:123], a[144:145], a[64:65], v[120:123]// 000000003D64: D3F30078 1DE28190
	v_mfma_f32_16x16x32_fp8_fp8 v[120:123], a[146:147], a[66:67], v[120:123]// 000000003D6C: D3F30078 1DE28592
	v_mfma_f32_16x16x32_fp8_fp8 v[120:123], a[148:149], a[68:69], v[120:123]// 000000003D74: D3F30078 1DE28994
	v_mfma_f32_16x16x32_fp8_fp8 v[120:123], a[150:151], a[70:71], v[120:123]// 000000003D7C: D3F30078 1DE28D96
	v_mfma_f32_16x16x32_fp8_fp8 v[156:159], a[152:153], a[64:65], v[156:159]// 000000003D84: D3F3009C 1E728198
	v_mfma_f32_16x16x32_fp8_fp8 v[156:159], a[154:155], a[66:67], v[156:159]// 000000003D8C: D3F3009C 1E72859A
	v_mfma_f32_16x16x32_fp8_fp8 v[156:159], a[156:157], a[68:69], v[156:159]// 000000003D94: D3F3009C 1E72899C
	v_mfma_f32_16x16x32_fp8_fp8 v[156:159], a[158:159], a[70:71], v[156:159]// 000000003D9C: D3F3009C 1E728D9E
	s_waitcnt vmcnt(22)                                        // 000000003DA4: BF8C4F76
	s_barrier                                                  // 000000003DA8: BF8A0000
	v_mfma_f32_16x16x32_fp8_fp8 v[160:163], a[160:161], a[0:1], v[160:163]// 000000003DAC: D3F300A0 1E8201A0
	v_mfma_f32_16x16x32_fp8_fp8 v[160:163], a[162:163], a[2:3], v[160:163]// 000000003DB4: D3F300A0 1E8205A2
	buffer_load_dwordx4 a[144:147], v84, s[84:87], 0 offen     // 000000003DBC: E05C1000 80959054
	v_mfma_f32_16x16x32_fp8_fp8 v[160:163], a[164:165], a[4:5], v[160:163]// 000000003DC4: D3F300A0 1E8209A4
	v_mfma_f32_16x16x32_fp8_fp8 v[160:163], a[166:167], a[6:7], v[160:163]// 000000003DCC: D3F300A0 1E820DA6
	ds_read_b128 a[72:75], v2 offset:18560                     // 000000003DD4: DBFE4880 48000002
	ds_read_b128 a[76:79], v2 offset:18624                     // 000000003DDC: DBFE48C0 4C000002
	v_mfma_f32_16x16x32_fp8_fp8 v[196:199], a[168:169], a[0:1], v[196:199]// 000000003DE4: D3F300C4 1F1201A8
	v_mfma_f32_16x16x32_fp8_fp8 v[196:199], a[170:171], a[2:3], v[196:199]// 000000003DEC: D3F300C4 1F1205AA
	buffer_load_dwordx4 a[148:151], v84, s[84:87], 0 offen offset:1024// 000000003DF4: E05C1400 80959454
	v_mfma_f32_16x16x32_fp8_fp8 v[196:199], a[172:173], a[4:5], v[196:199]// 000000003DFC: D3F300C4 1F1209AC
	v_mfma_f32_16x16x32_fp8_fp8 v[196:199], a[174:175], a[6:7], v[196:199]// 000000003E04: D3F300C4 1F120DAE
	ds_read_b128 a[80:83], v2 offset:19072                     // 000000003E0C: DBFE4A80 50000002
	ds_read_b128 a[84:87], v2 offset:19136                     // 000000003E14: DBFE4AC0 54000002
	v_mfma_f32_16x16x32_fp8_fp8 v[164:167], a[160:161], a[8:9], v[164:167]// 000000003E1C: D3F300A4 1E9211A0
	v_mfma_f32_16x16x32_fp8_fp8 v[164:167], a[162:163], a[10:11], v[164:167]// 000000003E24: D3F300A4 1E9215A2
	buffer_load_dwordx4 a[152:155], v85, s[84:87], 0 offen     // 000000003E2C: E05C1000 80959855
	v_mfma_f32_16x16x32_fp8_fp8 v[164:167], a[164:165], a[12:13], v[164:167]// 000000003E34: D3F300A4 1E9219A4
	v_mfma_f32_16x16x32_fp8_fp8 v[164:167], a[166:167], a[14:15], v[164:167]// 000000003E3C: D3F300A4 1E921DA6
	ds_read_b128 a[88:91], v2 offset:19584                     // 000000003E44: DBFE4C80 58000002
	ds_read_b128 a[92:95], v2 offset:19648                     // 000000003E4C: DBFE4CC0 5C000002
	v_mfma_f32_16x16x32_fp8_fp8 v[200:203], a[168:169], a[8:9], v[200:203]// 000000003E54: D3F300C8 1F2211A8
	v_mfma_f32_16x16x32_fp8_fp8 v[200:203], a[170:171], a[10:11], v[200:203]// 000000003E5C: D3F300C8 1F2215AA
	buffer_load_dwordx4 a[156:159], v85, s[84:87], 0 offen offset:1024// 000000003E64: E05C1400 80959C55
	v_mfma_f32_16x16x32_fp8_fp8 v[200:203], a[172:173], a[12:13], v[200:203]// 000000003E6C: D3F300C8 1F2219AC
	v_mfma_f32_16x16x32_fp8_fp8 v[200:203], a[174:175], a[14:15], v[200:203]// 000000003E74: D3F300C8 1F221DAE
	ds_read_b128 a[96:99], v2 offset:20096                     // 000000003E7C: DBFE4E80 60000002
	ds_read_b128 a[100:103], v2 offset:20160                   // 000000003E84: DBFE4EC0 64000002
	v_mfma_f32_16x16x32_fp8_fp8 v[168:171], a[160:161], a[16:17], v[168:171]// 000000003E8C: D3F300A8 1EA221A0
	v_mfma_f32_16x16x32_fp8_fp8 v[168:171], a[162:163], a[18:19], v[168:171]// 000000003E94: D3F300A8 1EA225A2
	v_mfma_f32_16x16x32_fp8_fp8 v[168:171], a[164:165], a[20:21], v[168:171]// 000000003E9C: D3F300A8 1EA229A4
	v_mfma_f32_16x16x32_fp8_fp8 v[168:171], a[166:167], a[22:23], v[168:171]// 000000003EA4: D3F300A8 1EA22DA6
	ds_read_b128 a[104:107], v2 offset:20608                   // 000000003EAC: DBFE5080 68000002
	ds_read_b128 a[108:111], v2 offset:20672                   // 000000003EB4: DBFE50C0 6C000002
	v_mfma_f32_16x16x32_fp8_fp8 v[204:207], a[168:169], a[16:17], v[204:207]// 000000003EBC: D3F300CC 1F3221A8
	v_mfma_f32_16x16x32_fp8_fp8 v[204:207], a[170:171], a[18:19], v[204:207]// 000000003EC4: D3F300CC 1F3225AA
	v_mfma_f32_16x16x32_fp8_fp8 v[204:207], a[172:173], a[20:21], v[204:207]// 000000003ECC: D3F300CC 1F3229AC
	v_mfma_f32_16x16x32_fp8_fp8 v[204:207], a[174:175], a[22:23], v[204:207]// 000000003ED4: D3F300CC 1F322DAE
	ds_read_b128 a[112:115], v2 offset:21120                   // 000000003EDC: DBFE5280 70000002
	ds_read_b128 a[116:119], v2 offset:21184                   // 000000003EE4: DBFE52C0 74000002
	v_mfma_f32_16x16x32_fp8_fp8 v[172:175], a[160:161], a[24:25], v[172:175]// 000000003EEC: D3F300AC 1EB231A0
	v_mfma_f32_16x16x32_fp8_fp8 v[172:175], a[162:163], a[26:27], v[172:175]// 000000003EF4: D3F300AC 1EB235A2
	v_mfma_f32_16x16x32_fp8_fp8 v[172:175], a[164:165], a[28:29], v[172:175]// 000000003EFC: D3F300AC 1EB239A4
	v_mfma_f32_16x16x32_fp8_fp8 v[172:175], a[166:167], a[30:31], v[172:175]// 000000003F04: D3F300AC 1EB23DA6
	ds_read_b128 a[120:123], v2 offset:21632                   // 000000003F0C: DBFE5480 78000002
	ds_read_b128 a[124:127], v2 offset:21696                   // 000000003F14: DBFE54C0 7C000002
	v_mfma_f32_16x16x32_fp8_fp8 v[208:211], a[168:169], a[24:25], v[208:211]// 000000003F1C: D3F300D0 1F4231A8
	v_mfma_f32_16x16x32_fp8_fp8 v[208:211], a[170:171], a[26:27], v[208:211]// 000000003F24: D3F300D0 1F4235AA
	v_mfma_f32_16x16x32_fp8_fp8 v[208:211], a[172:173], a[28:29], v[208:211]// 000000003F2C: D3F300D0 1F4239AC
	v_mfma_f32_16x16x32_fp8_fp8 v[208:211], a[174:175], a[30:31], v[208:211]// 000000003F34: D3F300D0 1F423DAE
	ds_read_b128 a[128:131], v2 offset:22144                   // 000000003F3C: DBFE5680 80000002
	ds_read_b128 a[132:135], v2 offset:22208                   // 000000003F44: DBFE56C0 84000002
	v_mfma_f32_16x16x32_fp8_fp8 v[176:179], a[160:161], a[32:33], v[176:179]// 000000003F4C: D3F300B0 1EC241A0
	v_mfma_f32_16x16x32_fp8_fp8 v[176:179], a[162:163], a[34:35], v[176:179]// 000000003F54: D3F300B0 1EC245A2
	v_mfma_f32_16x16x32_fp8_fp8 v[176:179], a[164:165], a[36:37], v[176:179]// 000000003F5C: D3F300B0 1EC249A4
	v_mfma_f32_16x16x32_fp8_fp8 v[176:179], a[166:167], a[38:39], v[176:179]// 000000003F64: D3F300B0 1EC24DA6
	ds_read_b128 a[136:139], v2 offset:22656                   // 000000003F6C: DBFE5880 88000002
	ds_read_b128 a[140:143], v2 offset:22720                   // 000000003F74: DBFE58C0 8C000002
	v_mfma_f32_16x16x32_fp8_fp8 v[212:215], a[168:169], a[32:33], v[212:215]// 000000003F7C: D3F300D4 1F5241A8
	v_mfma_f32_16x16x32_fp8_fp8 v[212:215], a[170:171], a[34:35], v[212:215]// 000000003F84: D3F300D4 1F5245AA
	v_mfma_f32_16x16x32_fp8_fp8 v[212:215], a[172:173], a[36:37], v[212:215]// 000000003F8C: D3F300D4 1F5249AC
	v_mfma_f32_16x16x32_fp8_fp8 v[212:215], a[174:175], a[38:39], v[212:215]// 000000003F94: D3F300D4 1F524DAE
	v_mfma_f32_16x16x32_fp8_fp8 v[180:183], a[160:161], a[40:41], v[180:183]// 000000003F9C: D3F300B4 1ED251A0
	v_mfma_f32_16x16x32_fp8_fp8 v[180:183], a[162:163], a[42:43], v[180:183]// 000000003FA4: D3F300B4 1ED255A2
	v_mfma_f32_16x16x32_fp8_fp8 v[180:183], a[164:165], a[44:45], v[180:183]// 000000003FAC: D3F300B4 1ED259A4
	v_mfma_f32_16x16x32_fp8_fp8 v[180:183], a[166:167], a[46:47], v[180:183]// 000000003FB4: D3F300B4 1ED25DA6
	v_mfma_f32_16x16x32_fp8_fp8 v[216:219], a[168:169], a[40:41], v[216:219]// 000000003FBC: D3F300D8 1F6251A8
	v_mfma_f32_16x16x32_fp8_fp8 v[216:219], a[170:171], a[42:43], v[216:219]// 000000003FC4: D3F300D8 1F6255AA
	v_mfma_f32_16x16x32_fp8_fp8 v[216:219], a[172:173], a[44:45], v[216:219]// 000000003FCC: D3F300D8 1F6259AC
	v_mfma_f32_16x16x32_fp8_fp8 v[216:219], a[174:175], a[46:47], v[216:219]// 000000003FD4: D3F300D8 1F625DAE
	v_mfma_f32_16x16x32_fp8_fp8 v[184:187], a[160:161], a[48:49], v[184:187]// 000000003FDC: D3F300B8 1EE261A0
	v_mfma_f32_16x16x32_fp8_fp8 v[184:187], a[162:163], a[50:51], v[184:187]// 000000003FE4: D3F300B8 1EE265A2
	v_mfma_f32_16x16x32_fp8_fp8 v[184:187], a[164:165], a[52:53], v[184:187]// 000000003FEC: D3F300B8 1EE269A4
	v_mfma_f32_16x16x32_fp8_fp8 v[184:187], a[166:167], a[54:55], v[184:187]// 000000003FF4: D3F300B8 1EE26DA6
	v_mfma_f32_16x16x32_fp8_fp8 v[220:223], a[168:169], a[48:49], v[220:223]// 000000003FFC: D3F300DC 1F7261A8
	v_mfma_f32_16x16x32_fp8_fp8 v[220:223], a[170:171], a[50:51], v[220:223]// 000000004004: D3F300DC 1F7265AA
	v_mfma_f32_16x16x32_fp8_fp8 v[220:223], a[172:173], a[52:53], v[220:223]// 00000000400C: D3F300DC 1F7269AC
	v_mfma_f32_16x16x32_fp8_fp8 v[220:223], a[174:175], a[54:55], v[220:223]// 000000004014: D3F300DC 1F726DAE
	v_mfma_f32_16x16x32_fp8_fp8 v[188:191], a[160:161], a[56:57], v[188:191]// 00000000401C: D3F300BC 1EF271A0
	v_mfma_f32_16x16x32_fp8_fp8 v[188:191], a[162:163], a[58:59], v[188:191]// 000000004024: D3F300BC 1EF275A2
	v_mfma_f32_16x16x32_fp8_fp8 v[188:191], a[164:165], a[60:61], v[188:191]// 00000000402C: D3F300BC 1EF279A4
	v_mfma_f32_16x16x32_fp8_fp8 v[188:191], a[166:167], a[62:63], v[188:191]// 000000004034: D3F300BC 1EF27DA6
	v_mfma_f32_16x16x32_fp8_fp8 v[224:227], a[168:169], a[56:57], v[224:227]// 00000000403C: D3F300E0 1F8271A8
	v_mfma_f32_16x16x32_fp8_fp8 v[224:227], a[170:171], a[58:59], v[224:227]// 000000004044: D3F300E0 1F8275AA
	v_mfma_f32_16x16x32_fp8_fp8 v[224:227], a[172:173], a[60:61], v[224:227]// 00000000404C: D3F300E0 1F8279AC
	v_mfma_f32_16x16x32_fp8_fp8 v[224:227], a[174:175], a[62:63], v[224:227]// 000000004054: D3F300E0 1F827DAE
	v_mfma_f32_16x16x32_fp8_fp8 v[192:195], a[160:161], a[64:65], v[192:195]// 00000000405C: D3F300C0 1F0281A0
	s_add_u32 s60, 0x180, s80                                  // 000000004064: 803C50FF 00000180
	s_cmp_lt_u32 s60, s81                                      // 00000000406C: BF0A513C
	s_cselect_b32 s57, s57, 0                                  // 000000004070: 85398039
	v_mfma_f32_16x16x32_fp8_fp8 v[192:195], a[162:163], a[66:67], v[192:195]// 000000004074: D3F300C0 1F0285A2
	s_add_u32 s60, 0x100, s80                                  // 00000000407C: 803C50FF 00000100
	s_cmp_lt_u32 s60, s81                                      // 000000004084: BF0A513C
	s_cselect_b32 s58, s58, 0                                  // 000000004088: 853A803A
	v_mfma_f32_16x16x32_fp8_fp8 v[192:195], a[164:165], a[68:69], v[192:195]// 00000000408C: D3F300C0 1F0289A4
	s_add_u32 s60, 0x100, s80                                  // 000000004094: 803C50FF 00000100
	s_cmp_lt_u32 s60, s81                                      // 00000000409C: BF0A513C
	s_cselect_b32 s83, s83, 0                                  // 0000000040A0: 85538053
	v_mfma_f32_16x16x32_fp8_fp8 v[192:195], a[166:167], a[70:71], v[192:195]// 0000000040A4: D3F300C0 1F028DA6
	s_add_u32 s24, s58, s24                                    // 0000000040AC: 8018183A
	s_addc_u32 s25, 0, s25                                     // 0000000040B0: 82191980
	v_mfma_f32_16x16x32_fp8_fp8 v[228:231], a[168:169], a[64:65], v[228:231]// 0000000040B4: D3F300E4 1F9281A8
	s_add_u32 s20, s57, s20                                    // 0000000040BC: 80141439
	s_addc_u32 s21, 0, s21                                     // 0000000040C0: 82151580
	v_mfma_f32_16x16x32_fp8_fp8 v[228:231], a[170:171], a[66:67], v[228:231]// 0000000040C4: D3F300E4 1F9285AA
	s_add_u32 s84, s83, s84                                    // 0000000040CC: 80545453
	s_addc_u32 s85, 0, s85                                     // 0000000040D0: 82555580
	v_mfma_f32_16x16x32_fp8_fp8 v[228:231], a[172:173], a[68:69], v[228:231]// 0000000040D4: D3F300E4 1F9289AC
	v_mfma_f32_16x16x32_fp8_fp8 v[228:231], a[174:175], a[70:71], v[228:231]// 0000000040DC: D3F300E4 1F928DAE
	s_addk_i32 s80, 0x80                                       // 0000000040E4: B7500080
	s_cmp_lt_i32 s80, s81                                      // 0000000040E8: BF045150
	s_cbranch_scc0 label_0E3C                                  // 0000000040EC: BF840880
	s_waitcnt vmcnt(22) lgkmcnt(0)                             // 0000000040F0: BF8C4076
	v_mfma_f32_16x16x32_fp8_fp8 v[88:91], a[176:177], a[72:73], v[88:91]// 0000000040F4: D3F30058 1D6291B0
	v_mfma_f32_16x16x32_fp8_fp8 v[88:91], a[178:179], a[74:75], v[88:91]// 0000000040FC: D3F30058 1D6295B2
	buffer_load_dwordx4 a[160:163], v84, s[24:27], 0 offen     // 000000004104: E05C1000 8086A054
	v_mfma_f32_16x16x32_fp8_fp8 v[88:91], a[180:181], a[76:77], v[88:91]// 00000000410C: D3F30058 1D6299B4
	v_mfma_f32_16x16x32_fp8_fp8 v[88:91], a[182:183], a[78:79], v[88:91]// 000000004114: D3F30058 1D629DB6
	v_mfma_f32_16x16x32_fp8_fp8 v[124:127], a[184:185], a[72:73], v[124:127]// 00000000411C: D3F3007C 1DF291B8
	v_mfma_f32_16x16x32_fp8_fp8 v[124:127], a[186:187], a[74:75], v[124:127]// 000000004124: D3F3007C 1DF295BA
	buffer_load_dwordx4 a[164:167], v84, s[24:27], 0 offen offset:1024// 00000000412C: E05C1400 8086A454
	v_mfma_f32_16x16x32_fp8_fp8 v[124:127], a[188:189], a[76:77], v[124:127]// 000000004134: D3F3007C 1DF299BC
	v_mfma_f32_16x16x32_fp8_fp8 v[124:127], a[190:191], a[78:79], v[124:127]// 00000000413C: D3F3007C 1DF29DBE
	v_mfma_f32_16x16x32_fp8_fp8 v[92:95], a[176:177], a[80:81], v[92:95]// 000000004144: D3F3005C 1D72A1B0
	v_mfma_f32_16x16x32_fp8_fp8 v[92:95], a[178:179], a[82:83], v[92:95]// 00000000414C: D3F3005C 1D72A5B2
	buffer_load_dwordx4 a[168:171], v85, s[24:27], 0 offen     // 000000004154: E05C1000 8086A855
	v_mfma_f32_16x16x32_fp8_fp8 v[92:95], a[180:181], a[84:85], v[92:95]// 00000000415C: D3F3005C 1D72A9B4
	v_mfma_f32_16x16x32_fp8_fp8 v[92:95], a[182:183], a[86:87], v[92:95]// 000000004164: D3F3005C 1D72ADB6
	v_mfma_f32_16x16x32_fp8_fp8 v[128:131], a[184:185], a[80:81], v[128:131]// 00000000416C: D3F30080 1E02A1B8
	v_mfma_f32_16x16x32_fp8_fp8 v[128:131], a[186:187], a[82:83], v[128:131]// 000000004174: D3F30080 1E02A5BA
	buffer_load_dwordx4 a[172:175], v85, s[24:27], 0 offen offset:1024// 00000000417C: E05C1400 8086AC55
	buffer_load_dword v66, s[20:23], 0 offen lds               // 000000004184: E0511000 80050042
	s_add_u32 m0, 0x100, s48                                   // 00000000418C: 807C30FF 00000100
	v_mfma_f32_16x16x32_fp8_fp8 v[128:131], a[188:189], a[84:85], v[128:131]// 000000004194: D3F30080 1E02A9BC
	v_mfma_f32_16x16x32_fp8_fp8 v[128:131], a[190:191], a[86:87], v[128:131]// 00000000419C: D3F30080 1E02ADBE
	buffer_load_dword v67, s[20:23], 0 offen lds               // 0000000041A4: E0511000 80050043
	s_add_u32 m0, 0x200, s48                                   // 0000000041AC: 807C30FF 00000200
	v_mfma_f32_16x16x32_fp8_fp8 v[96:99], a[176:177], a[88:89], v[96:99]// 0000000041B4: D3F30060 1D82B1B0
	v_mfma_f32_16x16x32_fp8_fp8 v[96:99], a[178:179], a[90:91], v[96:99]// 0000000041BC: D3F30060 1D82B5B2
	buffer_load_dword v68, s[20:23], 0 offen lds               // 0000000041C4: E0511000 80050044
	s_add_u32 m0, 0x300, s48                                   // 0000000041CC: 807C30FF 00000300
	v_mfma_f32_16x16x32_fp8_fp8 v[96:99], a[180:181], a[92:93], v[96:99]// 0000000041D4: D3F30060 1D82B9B4
	v_mfma_f32_16x16x32_fp8_fp8 v[96:99], a[182:183], a[94:95], v[96:99]// 0000000041DC: D3F30060 1D82BDB6
	buffer_load_dword v69, s[20:23], 0 offen lds               // 0000000041E4: E0511000 80050045
	s_add_u32 m0, 0x400, s48                                   // 0000000041EC: 807C30FF 00000400
	v_mfma_f32_16x16x32_fp8_fp8 v[132:135], a[184:185], a[88:89], v[132:135]// 0000000041F4: D3F30084 1E12B1B8
	v_mfma_f32_16x16x32_fp8_fp8 v[132:135], a[186:187], a[90:91], v[132:135]// 0000000041FC: D3F30084 1E12B5BA
	buffer_load_dword v70, s[20:23], 0 offen lds               // 000000004204: E0511000 80050046
	s_add_u32 m0, 0x500, s48                                   // 00000000420C: 807C30FF 00000500
	v_mfma_f32_16x16x32_fp8_fp8 v[132:135], a[188:189], a[92:93], v[132:135]// 000000004214: D3F30084 1E12B9BC
	v_mfma_f32_16x16x32_fp8_fp8 v[132:135], a[190:191], a[94:95], v[132:135]// 00000000421C: D3F30084 1E12BDBE
	buffer_load_dword v71, s[20:23], 0 offen lds               // 000000004224: E0511000 80050047
	s_add_u32 m0, 0x600, s48                                   // 00000000422C: 807C30FF 00000600
	v_mfma_f32_16x16x32_fp8_fp8 v[100:103], a[176:177], a[96:97], v[100:103]// 000000004234: D3F30064 1D92C1B0
	v_mfma_f32_16x16x32_fp8_fp8 v[100:103], a[178:179], a[98:99], v[100:103]// 00000000423C: D3F30064 1D92C5B2
	buffer_load_dword v72, s[20:23], 0 offen lds               // 000000004244: E0511000 80050048
	s_add_u32 m0, 0x700, s48                                   // 00000000424C: 807C30FF 00000700
	v_mfma_f32_16x16x32_fp8_fp8 v[100:103], a[180:181], a[100:101], v[100:103]// 000000004254: D3F30064 1D92C9B4
	v_mfma_f32_16x16x32_fp8_fp8 v[100:103], a[182:183], a[102:103], v[100:103]// 00000000425C: D3F30064 1D92CDB6
	buffer_load_dword v73, s[20:23], 0 offen lds               // 000000004264: E0511000 80050049
	s_add_u32 m0, 0x800, s48                                   // 00000000426C: 807C30FF 00000800
	v_mfma_f32_16x16x32_fp8_fp8 v[136:139], a[184:185], a[96:97], v[136:139]// 000000004274: D3F30088 1E22C1B8
	v_mfma_f32_16x16x32_fp8_fp8 v[136:139], a[186:187], a[98:99], v[136:139]// 00000000427C: D3F30088 1E22C5BA
	buffer_load_dword v74, s[20:23], 0 offen lds               // 000000004284: E0511000 8005004A
	s_add_u32 m0, 0x900, s48                                   // 00000000428C: 807C30FF 00000900
	v_mfma_f32_16x16x32_fp8_fp8 v[136:139], a[188:189], a[100:101], v[136:139]// 000000004294: D3F30088 1E22C9BC
	v_mfma_f32_16x16x32_fp8_fp8 v[136:139], a[190:191], a[102:103], v[136:139]// 00000000429C: D3F30088 1E22CDBE
	buffer_load_dword v75, s[20:23], 0 offen lds               // 0000000042A4: E0511000 8005004B
	s_add_u32 m0, 0xa00, s48                                   // 0000000042AC: 807C30FF 00000A00
	v_mfma_f32_16x16x32_fp8_fp8 v[104:107], a[176:177], a[104:105], v[104:107]// 0000000042B4: D3F30068 1DA2D1B0
	v_mfma_f32_16x16x32_fp8_fp8 v[104:107], a[178:179], a[106:107], v[104:107]// 0000000042BC: D3F30068 1DA2D5B2
	buffer_load_dword v76, s[20:23], 0 offen lds               // 0000000042C4: E0511000 8005004C
	s_add_u32 m0, 0xb00, s48                                   // 0000000042CC: 807C30FF 00000B00
	v_mfma_f32_16x16x32_fp8_fp8 v[104:107], a[180:181], a[108:109], v[104:107]// 0000000042D4: D3F30068 1DA2D9B4
	v_mfma_f32_16x16x32_fp8_fp8 v[104:107], a[182:183], a[110:111], v[104:107]// 0000000042DC: D3F30068 1DA2DDB6
	buffer_load_dword v77, s[20:23], 0 offen lds               // 0000000042E4: E0511000 8005004D
	s_add_u32 m0, 0xc00, s48                                   // 0000000042EC: 807C30FF 00000C00
	v_mfma_f32_16x16x32_fp8_fp8 v[140:143], a[184:185], a[104:105], v[140:143]// 0000000042F4: D3F3008C 1E32D1B8
	v_mfma_f32_16x16x32_fp8_fp8 v[140:143], a[186:187], a[106:107], v[140:143]// 0000000042FC: D3F3008C 1E32D5BA
	buffer_load_dword v78, s[20:23], 0 offen lds               // 000000004304: E0511000 8005004E
	s_add_u32 m0, 0xd00, s48                                   // 00000000430C: 807C30FF 00000D00
	v_mfma_f32_16x16x32_fp8_fp8 v[140:143], a[188:189], a[108:109], v[140:143]// 000000004314: D3F3008C 1E32D9BC
	v_mfma_f32_16x16x32_fp8_fp8 v[140:143], a[190:191], a[110:111], v[140:143]// 00000000431C: D3F3008C 1E32DDBE
	buffer_load_dword v79, s[20:23], 0 offen lds               // 000000004324: E0511000 8005004F
	s_add_u32 m0, 0xe00, s48                                   // 00000000432C: 807C30FF 00000E00
	v_mfma_f32_16x16x32_fp8_fp8 v[108:111], a[176:177], a[112:113], v[108:111]// 000000004334: D3F3006C 1DB2E1B0
	v_mfma_f32_16x16x32_fp8_fp8 v[108:111], a[178:179], a[114:115], v[108:111]// 00000000433C: D3F3006C 1DB2E5B2
	buffer_load_dword v80, s[20:23], 0 offen lds               // 000000004344: E0511000 80050050
	s_add_u32 m0, 0xf00, s48                                   // 00000000434C: 807C30FF 00000F00
	v_mfma_f32_16x16x32_fp8_fp8 v[108:111], a[180:181], a[116:117], v[108:111]// 000000004354: D3F3006C 1DB2E9B4
	v_mfma_f32_16x16x32_fp8_fp8 v[108:111], a[182:183], a[118:119], v[108:111]// 00000000435C: D3F3006C 1DB2EDB6
	buffer_load_dword v81, s[20:23], 0 offen lds               // 000000004364: E0511000 80050051
	s_add_u32 m0, 0x1000, s48                                  // 00000000436C: 807C30FF 00001000
	v_mfma_f32_16x16x32_fp8_fp8 v[144:147], a[184:185], a[112:113], v[144:147]// 000000004374: D3F30090 1E42E1B8
	v_mfma_f32_16x16x32_fp8_fp8 v[144:147], a[186:187], a[114:115], v[144:147]// 00000000437C: D3F30090 1E42E5BA
	buffer_load_dword v82, s[20:23], 0 offen lds               // 000000004384: E0511000 80050052
	s_add_u32 m0, 0x1100, s48                                  // 00000000438C: 807C30FF 00001100
	v_mfma_f32_16x16x32_fp8_fp8 v[144:147], a[188:189], a[116:117], v[144:147]// 000000004394: D3F30090 1E42E9BC
	v_mfma_f32_16x16x32_fp8_fp8 v[144:147], a[190:191], a[118:119], v[144:147]// 00000000439C: D3F30090 1E42EDBE
	buffer_load_dword v83, s[20:23], 0 offen lds               // 0000000043A4: E0511000 80050053
	s_add_u32 m0, 0, s49                                       // 0000000043AC: 807C3180
	v_mfma_f32_16x16x32_fp8_fp8 v[112:115], a[176:177], a[120:121], v[112:115]// 0000000043B0: D3F30070 1DC2F1B0
	v_mfma_f32_16x16x32_fp8_fp8 v[112:115], a[178:179], a[122:123], v[112:115]// 0000000043B8: D3F30070 1DC2F5B2
	v_mfma_f32_16x16x32_fp8_fp8 v[112:115], a[180:181], a[124:125], v[112:115]// 0000000043C0: D3F30070 1DC2F9B4
	v_mfma_f32_16x16x32_fp8_fp8 v[112:115], a[182:183], a[126:127], v[112:115]// 0000000043C8: D3F30070 1DC2FDB6
	v_mfma_f32_16x16x32_fp8_fp8 v[148:151], a[184:185], a[120:121], v[148:151]// 0000000043D0: D3F30094 1E52F1B8
	v_mfma_f32_16x16x32_fp8_fp8 v[148:151], a[186:187], a[122:123], v[148:151]// 0000000043D8: D3F30094 1E52F5BA
	v_mfma_f32_16x16x32_fp8_fp8 v[148:151], a[188:189], a[124:125], v[148:151]// 0000000043E0: D3F30094 1E52F9BC
	v_mfma_f32_16x16x32_fp8_fp8 v[148:151], a[190:191], a[126:127], v[148:151]// 0000000043E8: D3F30094 1E52FDBE
	v_mfma_f32_16x16x32_fp8_fp8 v[116:119], a[176:177], a[128:129], v[116:119]// 0000000043F0: D3F30074 1DD301B0
	v_mfma_f32_16x16x32_fp8_fp8 v[116:119], a[178:179], a[130:131], v[116:119]// 0000000043F8: D3F30074 1DD305B2
	v_mfma_f32_16x16x32_fp8_fp8 v[116:119], a[180:181], a[132:133], v[116:119]// 000000004400: D3F30074 1DD309B4
	v_mfma_f32_16x16x32_fp8_fp8 v[116:119], a[182:183], a[134:135], v[116:119]// 000000004408: D3F30074 1DD30DB6
	v_mfma_f32_16x16x32_fp8_fp8 v[152:155], a[184:185], a[128:129], v[152:155]// 000000004410: D3F30098 1E6301B8
	v_mfma_f32_16x16x32_fp8_fp8 v[152:155], a[186:187], a[130:131], v[152:155]// 000000004418: D3F30098 1E6305BA
	v_mfma_f32_16x16x32_fp8_fp8 v[152:155], a[188:189], a[132:133], v[152:155]// 000000004420: D3F30098 1E6309BC
	v_mfma_f32_16x16x32_fp8_fp8 v[152:155], a[190:191], a[134:135], v[152:155]// 000000004428: D3F30098 1E630DBE
	v_mfma_f32_16x16x32_fp8_fp8 v[120:123], a[176:177], a[136:137], v[120:123]// 000000004430: D3F30078 1DE311B0
	v_mfma_f32_16x16x32_fp8_fp8 v[120:123], a[178:179], a[138:139], v[120:123]// 000000004438: D3F30078 1DE315B2
	v_mfma_f32_16x16x32_fp8_fp8 v[120:123], a[180:181], a[140:141], v[120:123]// 000000004440: D3F30078 1DE319B4
	v_mfma_f32_16x16x32_fp8_fp8 v[120:123], a[182:183], a[142:143], v[120:123]// 000000004448: D3F30078 1DE31DB6
	v_mfma_f32_16x16x32_fp8_fp8 v[156:159], a[184:185], a[136:137], v[156:159]// 000000004450: D3F3009C 1E7311B8
	v_mfma_f32_16x16x32_fp8_fp8 v[156:159], a[186:187], a[138:139], v[156:159]// 000000004458: D3F3009C 1E7315BA
	v_mfma_f32_16x16x32_fp8_fp8 v[156:159], a[188:189], a[140:141], v[156:159]// 000000004460: D3F3009C 1E7319BC
	v_mfma_f32_16x16x32_fp8_fp8 v[156:159], a[190:191], a[142:143], v[156:159]// 000000004468: D3F3009C 1E731DBE
	s_waitcnt vmcnt(22)                                        // 000000004470: BF8C4F76
	s_barrier                                                  // 000000004474: BF8A0000
	v_mfma_f32_16x16x32_fp8_fp8 v[160:163], a[144:145], a[72:73], v[160:163]// 000000004478: D3F300A0 1E829190
	v_mfma_f32_16x16x32_fp8_fp8 v[160:163], a[146:147], a[74:75], v[160:163]// 000000004480: D3F300A0 1E829592
	buffer_load_dwordx4 a[176:179], v84, s[84:87], 0 offen     // 000000004488: E05C1000 8095B054
	v_mfma_f32_16x16x32_fp8_fp8 v[160:163], a[148:149], a[76:77], v[160:163]// 000000004490: D3F300A0 1E829994
	v_mfma_f32_16x16x32_fp8_fp8 v[160:163], a[150:151], a[78:79], v[160:163]// 000000004498: D3F300A0 1E829D96
	ds_read_b128 a[0:3], v2 offset:37120                       // 0000000044A0: DBFE9100 00000002
	ds_read_b128 a[4:7], v2 offset:37184                       // 0000000044A8: DBFE9140 04000002
	v_mfma_f32_16x16x32_fp8_fp8 v[196:199], a[152:153], a[72:73], v[196:199]// 0000000044B0: D3F300C4 1F129198
	v_mfma_f32_16x16x32_fp8_fp8 v[196:199], a[154:155], a[74:75], v[196:199]// 0000000044B8: D3F300C4 1F12959A
	buffer_load_dwordx4 a[180:183], v84, s[84:87], 0 offen offset:1024// 0000000044C0: E05C1400 8095B454
	v_mfma_f32_16x16x32_fp8_fp8 v[196:199], a[156:157], a[76:77], v[196:199]// 0000000044C8: D3F300C4 1F12999C
	v_mfma_f32_16x16x32_fp8_fp8 v[196:199], a[158:159], a[78:79], v[196:199]// 0000000044D0: D3F300C4 1F129D9E
	ds_read_b128 a[8:11], v2 offset:37632                      // 0000000044D8: DBFE9300 08000002
	ds_read_b128 a[12:15], v2 offset:37696                     // 0000000044E0: DBFE9340 0C000002
	v_mfma_f32_16x16x32_fp8_fp8 v[164:167], a[144:145], a[80:81], v[164:167]// 0000000044E8: D3F300A4 1E92A190
	v_mfma_f32_16x16x32_fp8_fp8 v[164:167], a[146:147], a[82:83], v[164:167]// 0000000044F0: D3F300A4 1E92A592
	buffer_load_dwordx4 a[184:187], v85, s[84:87], 0 offen     // 0000000044F8: E05C1000 8095B855
	v_mfma_f32_16x16x32_fp8_fp8 v[164:167], a[148:149], a[84:85], v[164:167]// 000000004500: D3F300A4 1E92A994
	v_mfma_f32_16x16x32_fp8_fp8 v[164:167], a[150:151], a[86:87], v[164:167]// 000000004508: D3F300A4 1E92AD96
	ds_read_b128 a[16:19], v2 offset:38144                     // 000000004510: DBFE9500 10000002
	ds_read_b128 a[20:23], v2 offset:38208                     // 000000004518: DBFE9540 14000002
	v_mfma_f32_16x16x32_fp8_fp8 v[200:203], a[152:153], a[80:81], v[200:203]// 000000004520: D3F300C8 1F22A198
	v_mfma_f32_16x16x32_fp8_fp8 v[200:203], a[154:155], a[82:83], v[200:203]// 000000004528: D3F300C8 1F22A59A
	buffer_load_dwordx4 a[188:191], v85, s[84:87], 0 offen offset:1024// 000000004530: E05C1400 8095BC55
	v_mfma_f32_16x16x32_fp8_fp8 v[200:203], a[156:157], a[84:85], v[200:203]// 000000004538: D3F300C8 1F22A99C
	v_mfma_f32_16x16x32_fp8_fp8 v[200:203], a[158:159], a[86:87], v[200:203]// 000000004540: D3F300C8 1F22AD9E
	ds_read_b128 a[24:27], v2 offset:38656                     // 000000004548: DBFE9700 18000002
	ds_read_b128 a[28:31], v2 offset:38720                     // 000000004550: DBFE9740 1C000002
	v_mfma_f32_16x16x32_fp8_fp8 v[168:171], a[144:145], a[88:89], v[168:171]// 000000004558: D3F300A8 1EA2B190
	v_mfma_f32_16x16x32_fp8_fp8 v[168:171], a[146:147], a[90:91], v[168:171]// 000000004560: D3F300A8 1EA2B592
	v_mfma_f32_16x16x32_fp8_fp8 v[168:171], a[148:149], a[92:93], v[168:171]// 000000004568: D3F300A8 1EA2B994
	v_mfma_f32_16x16x32_fp8_fp8 v[168:171], a[150:151], a[94:95], v[168:171]// 000000004570: D3F300A8 1EA2BD96
	ds_read_b128 a[32:35], v2 offset:39168                     // 000000004578: DBFE9900 20000002
	ds_read_b128 a[36:39], v2 offset:39232                     // 000000004580: DBFE9940 24000002
	v_mfma_f32_16x16x32_fp8_fp8 v[204:207], a[152:153], a[88:89], v[204:207]// 000000004588: D3F300CC 1F32B198
	v_mfma_f32_16x16x32_fp8_fp8 v[204:207], a[154:155], a[90:91], v[204:207]// 000000004590: D3F300CC 1F32B59A
	v_mfma_f32_16x16x32_fp8_fp8 v[204:207], a[156:157], a[92:93], v[204:207]// 000000004598: D3F300CC 1F32B99C
	v_mfma_f32_16x16x32_fp8_fp8 v[204:207], a[158:159], a[94:95], v[204:207]// 0000000045A0: D3F300CC 1F32BD9E
	ds_read_b128 a[40:43], v2 offset:39680                     // 0000000045A8: DBFE9B00 28000002
	ds_read_b128 a[44:47], v2 offset:39744                     // 0000000045B0: DBFE9B40 2C000002
	v_mfma_f32_16x16x32_fp8_fp8 v[172:175], a[144:145], a[96:97], v[172:175]// 0000000045B8: D3F300AC 1EB2C190
	v_mfma_f32_16x16x32_fp8_fp8 v[172:175], a[146:147], a[98:99], v[172:175]// 0000000045C0: D3F300AC 1EB2C592
	v_mfma_f32_16x16x32_fp8_fp8 v[172:175], a[148:149], a[100:101], v[172:175]// 0000000045C8: D3F300AC 1EB2C994
	v_mfma_f32_16x16x32_fp8_fp8 v[172:175], a[150:151], a[102:103], v[172:175]// 0000000045D0: D3F300AC 1EB2CD96
	ds_read_b128 a[48:51], v2 offset:40192                     // 0000000045D8: DBFE9D00 30000002
	ds_read_b128 a[52:55], v2 offset:40256                     // 0000000045E0: DBFE9D40 34000002
	v_mfma_f32_16x16x32_fp8_fp8 v[208:211], a[152:153], a[96:97], v[208:211]// 0000000045E8: D3F300D0 1F42C198
	v_mfma_f32_16x16x32_fp8_fp8 v[208:211], a[154:155], a[98:99], v[208:211]// 0000000045F0: D3F300D0 1F42C59A
	v_mfma_f32_16x16x32_fp8_fp8 v[208:211], a[156:157], a[100:101], v[208:211]// 0000000045F8: D3F300D0 1F42C99C
	v_mfma_f32_16x16x32_fp8_fp8 v[208:211], a[158:159], a[102:103], v[208:211]// 000000004600: D3F300D0 1F42CD9E
	ds_read_b128 a[56:59], v2 offset:40704                     // 000000004608: DBFE9F00 38000002
	ds_read_b128 a[60:63], v2 offset:40768                     // 000000004610: DBFE9F40 3C000002
	v_mfma_f32_16x16x32_fp8_fp8 v[176:179], a[144:145], a[104:105], v[176:179]// 000000004618: D3F300B0 1EC2D190
	v_mfma_f32_16x16x32_fp8_fp8 v[176:179], a[146:147], a[106:107], v[176:179]// 000000004620: D3F300B0 1EC2D592
	v_mfma_f32_16x16x32_fp8_fp8 v[176:179], a[148:149], a[108:109], v[176:179]// 000000004628: D3F300B0 1EC2D994
	v_mfma_f32_16x16x32_fp8_fp8 v[176:179], a[150:151], a[110:111], v[176:179]// 000000004630: D3F300B0 1EC2DD96
	ds_read_b128 a[64:67], v2 offset:41216                     // 000000004638: DBFEA100 40000002
	ds_read_b128 a[68:71], v2 offset:41280                     // 000000004640: DBFEA140 44000002
	v_mfma_f32_16x16x32_fp8_fp8 v[212:215], a[152:153], a[104:105], v[212:215]// 000000004648: D3F300D4 1F52D198
	v_mfma_f32_16x16x32_fp8_fp8 v[212:215], a[154:155], a[106:107], v[212:215]// 000000004650: D3F300D4 1F52D59A
	v_mfma_f32_16x16x32_fp8_fp8 v[212:215], a[156:157], a[108:109], v[212:215]// 000000004658: D3F300D4 1F52D99C
	v_mfma_f32_16x16x32_fp8_fp8 v[212:215], a[158:159], a[110:111], v[212:215]// 000000004660: D3F300D4 1F52DD9E
	v_mfma_f32_16x16x32_fp8_fp8 v[180:183], a[144:145], a[112:113], v[180:183]// 000000004668: D3F300B4 1ED2E190
	v_mfma_f32_16x16x32_fp8_fp8 v[180:183], a[146:147], a[114:115], v[180:183]// 000000004670: D3F300B4 1ED2E592
	v_mfma_f32_16x16x32_fp8_fp8 v[180:183], a[148:149], a[116:117], v[180:183]// 000000004678: D3F300B4 1ED2E994
	v_mfma_f32_16x16x32_fp8_fp8 v[180:183], a[150:151], a[118:119], v[180:183]// 000000004680: D3F300B4 1ED2ED96
	v_mfma_f32_16x16x32_fp8_fp8 v[216:219], a[152:153], a[112:113], v[216:219]// 000000004688: D3F300D8 1F62E198
	v_mfma_f32_16x16x32_fp8_fp8 v[216:219], a[154:155], a[114:115], v[216:219]// 000000004690: D3F300D8 1F62E59A
	v_mfma_f32_16x16x32_fp8_fp8 v[216:219], a[156:157], a[116:117], v[216:219]// 000000004698: D3F300D8 1F62E99C
	v_mfma_f32_16x16x32_fp8_fp8 v[216:219], a[158:159], a[118:119], v[216:219]// 0000000046A0: D3F300D8 1F62ED9E
	v_mfma_f32_16x16x32_fp8_fp8 v[184:187], a[144:145], a[120:121], v[184:187]// 0000000046A8: D3F300B8 1EE2F190
	v_mfma_f32_16x16x32_fp8_fp8 v[184:187], a[146:147], a[122:123], v[184:187]// 0000000046B0: D3F300B8 1EE2F592
	v_mfma_f32_16x16x32_fp8_fp8 v[184:187], a[148:149], a[124:125], v[184:187]// 0000000046B8: D3F300B8 1EE2F994
	v_mfma_f32_16x16x32_fp8_fp8 v[184:187], a[150:151], a[126:127], v[184:187]// 0000000046C0: D3F300B8 1EE2FD96
	v_mfma_f32_16x16x32_fp8_fp8 v[220:223], a[152:153], a[120:121], v[220:223]// 0000000046C8: D3F300DC 1F72F198
	v_mfma_f32_16x16x32_fp8_fp8 v[220:223], a[154:155], a[122:123], v[220:223]// 0000000046D0: D3F300DC 1F72F59A
	v_mfma_f32_16x16x32_fp8_fp8 v[220:223], a[156:157], a[124:125], v[220:223]// 0000000046D8: D3F300DC 1F72F99C
	v_mfma_f32_16x16x32_fp8_fp8 v[220:223], a[158:159], a[126:127], v[220:223]// 0000000046E0: D3F300DC 1F72FD9E
	v_mfma_f32_16x16x32_fp8_fp8 v[188:191], a[144:145], a[128:129], v[188:191]// 0000000046E8: D3F300BC 1EF30190
	v_mfma_f32_16x16x32_fp8_fp8 v[188:191], a[146:147], a[130:131], v[188:191]// 0000000046F0: D3F300BC 1EF30592
	v_mfma_f32_16x16x32_fp8_fp8 v[188:191], a[148:149], a[132:133], v[188:191]// 0000000046F8: D3F300BC 1EF30994
	v_mfma_f32_16x16x32_fp8_fp8 v[188:191], a[150:151], a[134:135], v[188:191]// 000000004700: D3F300BC 1EF30D96
	v_mfma_f32_16x16x32_fp8_fp8 v[224:227], a[152:153], a[128:129], v[224:227]// 000000004708: D3F300E0 1F830198
	v_mfma_f32_16x16x32_fp8_fp8 v[224:227], a[154:155], a[130:131], v[224:227]// 000000004710: D3F300E0 1F83059A
	v_mfma_f32_16x16x32_fp8_fp8 v[224:227], a[156:157], a[132:133], v[224:227]// 000000004718: D3F300E0 1F83099C
	v_mfma_f32_16x16x32_fp8_fp8 v[224:227], a[158:159], a[134:135], v[224:227]// 000000004720: D3F300E0 1F830D9E
	v_mfma_f32_16x16x32_fp8_fp8 v[192:195], a[144:145], a[136:137], v[192:195]// 000000004728: D3F300C0 1F031190
	s_add_u32 s60, 0x180, s80                                  // 000000004730: 803C50FF 00000180
	s_cmp_lt_u32 s60, s81                                      // 000000004738: BF0A513C
	s_cselect_b32 s57, s57, 0                                  // 00000000473C: 85398039
	v_mfma_f32_16x16x32_fp8_fp8 v[192:195], a[146:147], a[138:139], v[192:195]// 000000004740: D3F300C0 1F031592
	s_add_u32 s60, 0x100, s80                                  // 000000004748: 803C50FF 00000100
	s_cmp_lt_u32 s60, s81                                      // 000000004750: BF0A513C
	s_cselect_b32 s58, s58, 0                                  // 000000004754: 853A803A
	v_mfma_f32_16x16x32_fp8_fp8 v[192:195], a[148:149], a[140:141], v[192:195]// 000000004758: D3F300C0 1F031994
	s_add_u32 s60, 0x100, s80                                  // 000000004760: 803C50FF 00000100
	s_cmp_lt_u32 s60, s81                                      // 000000004768: BF0A513C
	s_cselect_b32 s83, s83, 0                                  // 00000000476C: 85538053
	v_mfma_f32_16x16x32_fp8_fp8 v[192:195], a[150:151], a[142:143], v[192:195]// 000000004770: D3F300C0 1F031D96
	s_add_u32 s24, s58, s24                                    // 000000004778: 8018183A
	s_addc_u32 s25, 0, s25                                     // 00000000477C: 82191980
	v_mfma_f32_16x16x32_fp8_fp8 v[228:231], a[152:153], a[136:137], v[228:231]// 000000004780: D3F300E4 1F931198
	s_add_u32 s20, s57, s20                                    // 000000004788: 80141439
	s_addc_u32 s21, 0, s21                                     // 00000000478C: 82151580
	v_mfma_f32_16x16x32_fp8_fp8 v[228:231], a[154:155], a[138:139], v[228:231]// 000000004790: D3F300E4 1F93159A
	s_add_u32 s84, s83, s84                                    // 000000004798: 80545453
	s_addc_u32 s85, 0, s85                                     // 00000000479C: 82555580
	v_mfma_f32_16x16x32_fp8_fp8 v[228:231], a[156:157], a[140:141], v[228:231]// 0000000047A0: D3F300E4 1F93199C
	v_mfma_f32_16x16x32_fp8_fp8 v[228:231], a[158:159], a[142:143], v[228:231]// 0000000047A8: D3F300E4 1F931D9E
	s_addk_i32 s80, 0x80                                       // 0000000047B0: B7500080
	s_cmp_lt_i32 s80, s81                                      // 0000000047B4: BF045150
	s_cbranch_scc0 label_0E3C                                  // 0000000047B8: BF8406CD
	s_waitcnt vmcnt(22) lgkmcnt(0)                             // 0000000047BC: BF8C4076
	v_mfma_f32_16x16x32_fp8_fp8 v[88:91], a[160:161], a[0:1], v[88:91]// 0000000047C0: D3F30058 1D6201A0
	v_mfma_f32_16x16x32_fp8_fp8 v[88:91], a[162:163], a[2:3], v[88:91]// 0000000047C8: D3F30058 1D6205A2
	buffer_load_dwordx4 a[144:147], v84, s[24:27], 0 offen     // 0000000047D0: E05C1000 80869054
	v_mfma_f32_16x16x32_fp8_fp8 v[88:91], a[164:165], a[4:5], v[88:91]// 0000000047D8: D3F30058 1D6209A4
	v_mfma_f32_16x16x32_fp8_fp8 v[88:91], a[166:167], a[6:7], v[88:91]// 0000000047E0: D3F30058 1D620DA6
	v_mfma_f32_16x16x32_fp8_fp8 v[124:127], a[168:169], a[0:1], v[124:127]// 0000000047E8: D3F3007C 1DF201A8
	v_mfma_f32_16x16x32_fp8_fp8 v[124:127], a[170:171], a[2:3], v[124:127]// 0000000047F0: D3F3007C 1DF205AA
	buffer_load_dwordx4 a[148:151], v84, s[24:27], 0 offen offset:1024// 0000000047F8: E05C1400 80869454
	v_mfma_f32_16x16x32_fp8_fp8 v[124:127], a[172:173], a[4:5], v[124:127]// 000000004800: D3F3007C 1DF209AC
	v_mfma_f32_16x16x32_fp8_fp8 v[124:127], a[174:175], a[6:7], v[124:127]// 000000004808: D3F3007C 1DF20DAE
	v_mfma_f32_16x16x32_fp8_fp8 v[92:95], a[160:161], a[8:9], v[92:95]// 000000004810: D3F3005C 1D7211A0
	v_mfma_f32_16x16x32_fp8_fp8 v[92:95], a[162:163], a[10:11], v[92:95]// 000000004818: D3F3005C 1D7215A2
	buffer_load_dwordx4 a[152:155], v85, s[24:27], 0 offen     // 000000004820: E05C1000 80869855
	v_mfma_f32_16x16x32_fp8_fp8 v[92:95], a[164:165], a[12:13], v[92:95]// 000000004828: D3F3005C 1D7219A4
	v_mfma_f32_16x16x32_fp8_fp8 v[92:95], a[166:167], a[14:15], v[92:95]// 000000004830: D3F3005C 1D721DA6
	v_mfma_f32_16x16x32_fp8_fp8 v[128:131], a[168:169], a[8:9], v[128:131]// 000000004838: D3F30080 1E0211A8
	v_mfma_f32_16x16x32_fp8_fp8 v[128:131], a[170:171], a[10:11], v[128:131]// 000000004840: D3F30080 1E0215AA
	buffer_load_dwordx4 a[156:159], v85, s[24:27], 0 offen offset:1024// 000000004848: E05C1400 80869C55
	buffer_load_dword v66, s[20:23], 0 offen lds               // 000000004850: E0511000 80050042
	s_add_u32 m0, 0x100, s49                                   // 000000004858: 807C31FF 00000100
	v_mfma_f32_16x16x32_fp8_fp8 v[128:131], a[172:173], a[12:13], v[128:131]// 000000004860: D3F30080 1E0219AC
	v_mfma_f32_16x16x32_fp8_fp8 v[128:131], a[174:175], a[14:15], v[128:131]// 000000004868: D3F30080 1E021DAE
	buffer_load_dword v67, s[20:23], 0 offen lds               // 000000004870: E0511000 80050043
	s_add_u32 m0, 0x200, s49                                   // 000000004878: 807C31FF 00000200
	v_mfma_f32_16x16x32_fp8_fp8 v[96:99], a[160:161], a[16:17], v[96:99]// 000000004880: D3F30060 1D8221A0
	v_mfma_f32_16x16x32_fp8_fp8 v[96:99], a[162:163], a[18:19], v[96:99]// 000000004888: D3F30060 1D8225A2
	buffer_load_dword v68, s[20:23], 0 offen lds               // 000000004890: E0511000 80050044
	s_add_u32 m0, 0x300, s49                                   // 000000004898: 807C31FF 00000300
	v_mfma_f32_16x16x32_fp8_fp8 v[96:99], a[164:165], a[20:21], v[96:99]// 0000000048A0: D3F30060 1D8229A4
	v_mfma_f32_16x16x32_fp8_fp8 v[96:99], a[166:167], a[22:23], v[96:99]// 0000000048A8: D3F30060 1D822DA6
	buffer_load_dword v69, s[20:23], 0 offen lds               // 0000000048B0: E0511000 80050045
	s_add_u32 m0, 0x400, s49                                   // 0000000048B8: 807C31FF 00000400
	v_mfma_f32_16x16x32_fp8_fp8 v[132:135], a[168:169], a[16:17], v[132:135]// 0000000048C0: D3F30084 1E1221A8
	v_mfma_f32_16x16x32_fp8_fp8 v[132:135], a[170:171], a[18:19], v[132:135]// 0000000048C8: D3F30084 1E1225AA
	buffer_load_dword v70, s[20:23], 0 offen lds               // 0000000048D0: E0511000 80050046
	s_add_u32 m0, 0x500, s49                                   // 0000000048D8: 807C31FF 00000500
	v_mfma_f32_16x16x32_fp8_fp8 v[132:135], a[172:173], a[20:21], v[132:135]// 0000000048E0: D3F30084 1E1229AC
	v_mfma_f32_16x16x32_fp8_fp8 v[132:135], a[174:175], a[22:23], v[132:135]// 0000000048E8: D3F30084 1E122DAE
	buffer_load_dword v71, s[20:23], 0 offen lds               // 0000000048F0: E0511000 80050047
	s_add_u32 m0, 0x600, s49                                   // 0000000048F8: 807C31FF 00000600
	v_mfma_f32_16x16x32_fp8_fp8 v[100:103], a[160:161], a[24:25], v[100:103]// 000000004900: D3F30064 1D9231A0
	v_mfma_f32_16x16x32_fp8_fp8 v[100:103], a[162:163], a[26:27], v[100:103]// 000000004908: D3F30064 1D9235A2
	buffer_load_dword v72, s[20:23], 0 offen lds               // 000000004910: E0511000 80050048
	s_add_u32 m0, 0x700, s49                                   // 000000004918: 807C31FF 00000700
	v_mfma_f32_16x16x32_fp8_fp8 v[100:103], a[164:165], a[28:29], v[100:103]// 000000004920: D3F30064 1D9239A4
	v_mfma_f32_16x16x32_fp8_fp8 v[100:103], a[166:167], a[30:31], v[100:103]// 000000004928: D3F30064 1D923DA6
	buffer_load_dword v73, s[20:23], 0 offen lds               // 000000004930: E0511000 80050049
	s_add_u32 m0, 0x800, s49                                   // 000000004938: 807C31FF 00000800
	v_mfma_f32_16x16x32_fp8_fp8 v[136:139], a[168:169], a[24:25], v[136:139]// 000000004940: D3F30088 1E2231A8
	v_mfma_f32_16x16x32_fp8_fp8 v[136:139], a[170:171], a[26:27], v[136:139]// 000000004948: D3F30088 1E2235AA
	buffer_load_dword v74, s[20:23], 0 offen lds               // 000000004950: E0511000 8005004A
	s_add_u32 m0, 0x900, s49                                   // 000000004958: 807C31FF 00000900
	v_mfma_f32_16x16x32_fp8_fp8 v[136:139], a[172:173], a[28:29], v[136:139]// 000000004960: D3F30088 1E2239AC
	v_mfma_f32_16x16x32_fp8_fp8 v[136:139], a[174:175], a[30:31], v[136:139]// 000000004968: D3F30088 1E223DAE
	buffer_load_dword v75, s[20:23], 0 offen lds               // 000000004970: E0511000 8005004B
	s_add_u32 m0, 0xa00, s49                                   // 000000004978: 807C31FF 00000A00
	v_mfma_f32_16x16x32_fp8_fp8 v[104:107], a[160:161], a[32:33], v[104:107]// 000000004980: D3F30068 1DA241A0
	v_mfma_f32_16x16x32_fp8_fp8 v[104:107], a[162:163], a[34:35], v[104:107]// 000000004988: D3F30068 1DA245A2
	buffer_load_dword v76, s[20:23], 0 offen lds               // 000000004990: E0511000 8005004C
	s_add_u32 m0, 0xb00, s49                                   // 000000004998: 807C31FF 00000B00
	v_mfma_f32_16x16x32_fp8_fp8 v[104:107], a[164:165], a[36:37], v[104:107]// 0000000049A0: D3F30068 1DA249A4
	v_mfma_f32_16x16x32_fp8_fp8 v[104:107], a[166:167], a[38:39], v[104:107]// 0000000049A8: D3F30068 1DA24DA6
	buffer_load_dword v77, s[20:23], 0 offen lds               // 0000000049B0: E0511000 8005004D
	s_add_u32 m0, 0xc00, s49                                   // 0000000049B8: 807C31FF 00000C00
	v_mfma_f32_16x16x32_fp8_fp8 v[140:143], a[168:169], a[32:33], v[140:143]// 0000000049C0: D3F3008C 1E3241A8
	v_mfma_f32_16x16x32_fp8_fp8 v[140:143], a[170:171], a[34:35], v[140:143]// 0000000049C8: D3F3008C 1E3245AA
	buffer_load_dword v78, s[20:23], 0 offen lds               // 0000000049D0: E0511000 8005004E
	s_add_u32 m0, 0xd00, s49                                   // 0000000049D8: 807C31FF 00000D00
	v_mfma_f32_16x16x32_fp8_fp8 v[140:143], a[172:173], a[36:37], v[140:143]// 0000000049E0: D3F3008C 1E3249AC
	v_mfma_f32_16x16x32_fp8_fp8 v[140:143], a[174:175], a[38:39], v[140:143]// 0000000049E8: D3F3008C 1E324DAE
	buffer_load_dword v79, s[20:23], 0 offen lds               // 0000000049F0: E0511000 8005004F
	s_add_u32 m0, 0xe00, s49                                   // 0000000049F8: 807C31FF 00000E00
	v_mfma_f32_16x16x32_fp8_fp8 v[108:111], a[160:161], a[40:41], v[108:111]// 000000004A00: D3F3006C 1DB251A0
	v_mfma_f32_16x16x32_fp8_fp8 v[108:111], a[162:163], a[42:43], v[108:111]// 000000004A08: D3F3006C 1DB255A2
	buffer_load_dword v80, s[20:23], 0 offen lds               // 000000004A10: E0511000 80050050
	s_add_u32 m0, 0xf00, s49                                   // 000000004A18: 807C31FF 00000F00
	v_mfma_f32_16x16x32_fp8_fp8 v[108:111], a[164:165], a[44:45], v[108:111]// 000000004A20: D3F3006C 1DB259A4
	v_mfma_f32_16x16x32_fp8_fp8 v[108:111], a[166:167], a[46:47], v[108:111]// 000000004A28: D3F3006C 1DB25DA6
	buffer_load_dword v81, s[20:23], 0 offen lds               // 000000004A30: E0511000 80050051
	s_add_u32 m0, 0x1000, s49                                  // 000000004A38: 807C31FF 00001000
	v_mfma_f32_16x16x32_fp8_fp8 v[144:147], a[168:169], a[40:41], v[144:147]// 000000004A40: D3F30090 1E4251A8
	v_mfma_f32_16x16x32_fp8_fp8 v[144:147], a[170:171], a[42:43], v[144:147]// 000000004A48: D3F30090 1E4255AA
	buffer_load_dword v82, s[20:23], 0 offen lds               // 000000004A50: E0511000 80050052
	s_add_u32 m0, 0x1100, s49                                  // 000000004A58: 807C31FF 00001100
	v_mfma_f32_16x16x32_fp8_fp8 v[144:147], a[172:173], a[44:45], v[144:147]// 000000004A60: D3F30090 1E4259AC
	v_mfma_f32_16x16x32_fp8_fp8 v[144:147], a[174:175], a[46:47], v[144:147]// 000000004A68: D3F30090 1E425DAE
	buffer_load_dword v83, s[20:23], 0 offen lds               // 000000004A70: E0511000 80050053
	s_add_u32 m0, 0, s50                                       // 000000004A78: 807C3280
	v_mfma_f32_16x16x32_fp8_fp8 v[112:115], a[160:161], a[48:49], v[112:115]// 000000004A7C: D3F30070 1DC261A0
	v_mfma_f32_16x16x32_fp8_fp8 v[112:115], a[162:163], a[50:51], v[112:115]// 000000004A84: D3F30070 1DC265A2
	v_mfma_f32_16x16x32_fp8_fp8 v[112:115], a[164:165], a[52:53], v[112:115]// 000000004A8C: D3F30070 1DC269A4
	v_mfma_f32_16x16x32_fp8_fp8 v[112:115], a[166:167], a[54:55], v[112:115]// 000000004A94: D3F30070 1DC26DA6
	v_mfma_f32_16x16x32_fp8_fp8 v[148:151], a[168:169], a[48:49], v[148:151]// 000000004A9C: D3F30094 1E5261A8
	v_mfma_f32_16x16x32_fp8_fp8 v[148:151], a[170:171], a[50:51], v[148:151]// 000000004AA4: D3F30094 1E5265AA
	v_mfma_f32_16x16x32_fp8_fp8 v[148:151], a[172:173], a[52:53], v[148:151]// 000000004AAC: D3F30094 1E5269AC
	v_mfma_f32_16x16x32_fp8_fp8 v[148:151], a[174:175], a[54:55], v[148:151]// 000000004AB4: D3F30094 1E526DAE
	v_mfma_f32_16x16x32_fp8_fp8 v[116:119], a[160:161], a[56:57], v[116:119]// 000000004ABC: D3F30074 1DD271A0
	v_mfma_f32_16x16x32_fp8_fp8 v[116:119], a[162:163], a[58:59], v[116:119]// 000000004AC4: D3F30074 1DD275A2
	v_mfma_f32_16x16x32_fp8_fp8 v[116:119], a[164:165], a[60:61], v[116:119]// 000000004ACC: D3F30074 1DD279A4
	v_mfma_f32_16x16x32_fp8_fp8 v[116:119], a[166:167], a[62:63], v[116:119]// 000000004AD4: D3F30074 1DD27DA6
	v_mfma_f32_16x16x32_fp8_fp8 v[152:155], a[168:169], a[56:57], v[152:155]// 000000004ADC: D3F30098 1E6271A8
	v_mfma_f32_16x16x32_fp8_fp8 v[152:155], a[170:171], a[58:59], v[152:155]// 000000004AE4: D3F30098 1E6275AA
	v_mfma_f32_16x16x32_fp8_fp8 v[152:155], a[172:173], a[60:61], v[152:155]// 000000004AEC: D3F30098 1E6279AC
	v_mfma_f32_16x16x32_fp8_fp8 v[152:155], a[174:175], a[62:63], v[152:155]// 000000004AF4: D3F30098 1E627DAE
	v_mfma_f32_16x16x32_fp8_fp8 v[120:123], a[160:161], a[64:65], v[120:123]// 000000004AFC: D3F30078 1DE281A0
	v_mfma_f32_16x16x32_fp8_fp8 v[120:123], a[162:163], a[66:67], v[120:123]// 000000004B04: D3F30078 1DE285A2
	v_mfma_f32_16x16x32_fp8_fp8 v[120:123], a[164:165], a[68:69], v[120:123]// 000000004B0C: D3F30078 1DE289A4
	v_mfma_f32_16x16x32_fp8_fp8 v[120:123], a[166:167], a[70:71], v[120:123]// 000000004B14: D3F30078 1DE28DA6
	v_mfma_f32_16x16x32_fp8_fp8 v[156:159], a[168:169], a[64:65], v[156:159]// 000000004B1C: D3F3009C 1E7281A8
	v_mfma_f32_16x16x32_fp8_fp8 v[156:159], a[170:171], a[66:67], v[156:159]// 000000004B24: D3F3009C 1E7285AA
	v_mfma_f32_16x16x32_fp8_fp8 v[156:159], a[172:173], a[68:69], v[156:159]// 000000004B2C: D3F3009C 1E7289AC
	v_mfma_f32_16x16x32_fp8_fp8 v[156:159], a[174:175], a[70:71], v[156:159]// 000000004B34: D3F3009C 1E728DAE
	s_waitcnt vmcnt(22)                                        // 000000004B3C: BF8C4F76
	s_barrier                                                  // 000000004B40: BF8A0000
	v_mfma_f32_16x16x32_fp8_fp8 v[160:163], a[176:177], a[0:1], v[160:163]// 000000004B44: D3F300A0 1E8201B0
	v_mfma_f32_16x16x32_fp8_fp8 v[160:163], a[178:179], a[2:3], v[160:163]// 000000004B4C: D3F300A0 1E8205B2
	buffer_load_dwordx4 a[160:163], v84, s[84:87], 0 offen     // 000000004B54: E05C1000 8095A054
	v_mfma_f32_16x16x32_fp8_fp8 v[160:163], a[180:181], a[4:5], v[160:163]// 000000004B5C: D3F300A0 1E8209B4
	v_mfma_f32_16x16x32_fp8_fp8 v[160:163], a[182:183], a[6:7], v[160:163]// 000000004B64: D3F300A0 1E820DB6
	ds_read_b128 a[72:75], v2                                  // 000000004B6C: DBFE0000 48000002
	ds_read_b128 a[76:79], v2 offset:64                        // 000000004B74: DBFE0040 4C000002
	v_mfma_f32_16x16x32_fp8_fp8 v[196:199], a[184:185], a[0:1], v[196:199]// 000000004B7C: D3F300C4 1F1201B8
	v_mfma_f32_16x16x32_fp8_fp8 v[196:199], a[186:187], a[2:3], v[196:199]// 000000004B84: D3F300C4 1F1205BA
	buffer_load_dwordx4 a[164:167], v84, s[84:87], 0 offen offset:1024// 000000004B8C: E05C1400 8095A454
	v_mfma_f32_16x16x32_fp8_fp8 v[196:199], a[188:189], a[4:5], v[196:199]// 000000004B94: D3F300C4 1F1209BC
	v_mfma_f32_16x16x32_fp8_fp8 v[196:199], a[190:191], a[6:7], v[196:199]// 000000004B9C: D3F300C4 1F120DBE
	ds_read_b128 a[80:83], v2 offset:512                       // 000000004BA4: DBFE0200 50000002
	ds_read_b128 a[84:87], v2 offset:576                       // 000000004BAC: DBFE0240 54000002
	v_mfma_f32_16x16x32_fp8_fp8 v[164:167], a[176:177], a[8:9], v[164:167]// 000000004BB4: D3F300A4 1E9211B0
	v_mfma_f32_16x16x32_fp8_fp8 v[164:167], a[178:179], a[10:11], v[164:167]// 000000004BBC: D3F300A4 1E9215B2
	buffer_load_dwordx4 a[168:171], v85, s[84:87], 0 offen     // 000000004BC4: E05C1000 8095A855
	v_mfma_f32_16x16x32_fp8_fp8 v[164:167], a[180:181], a[12:13], v[164:167]// 000000004BCC: D3F300A4 1E9219B4
	v_mfma_f32_16x16x32_fp8_fp8 v[164:167], a[182:183], a[14:15], v[164:167]// 000000004BD4: D3F300A4 1E921DB6
	ds_read_b128 a[88:91], v2 offset:1024                      // 000000004BDC: DBFE0400 58000002
	ds_read_b128 a[92:95], v2 offset:1088                      // 000000004BE4: DBFE0440 5C000002
	v_mfma_f32_16x16x32_fp8_fp8 v[200:203], a[184:185], a[8:9], v[200:203]// 000000004BEC: D3F300C8 1F2211B8
	v_mfma_f32_16x16x32_fp8_fp8 v[200:203], a[186:187], a[10:11], v[200:203]// 000000004BF4: D3F300C8 1F2215BA
	buffer_load_dwordx4 a[172:175], v85, s[84:87], 0 offen offset:1024// 000000004BFC: E05C1400 8095AC55
	v_mfma_f32_16x16x32_fp8_fp8 v[200:203], a[188:189], a[12:13], v[200:203]// 000000004C04: D3F300C8 1F2219BC
	v_mfma_f32_16x16x32_fp8_fp8 v[200:203], a[190:191], a[14:15], v[200:203]// 000000004C0C: D3F300C8 1F221DBE
	ds_read_b128 a[96:99], v2 offset:1536                      // 000000004C14: DBFE0600 60000002
	ds_read_b128 a[100:103], v2 offset:1600                    // 000000004C1C: DBFE0640 64000002
	v_mfma_f32_16x16x32_fp8_fp8 v[168:171], a[176:177], a[16:17], v[168:171]// 000000004C24: D3F300A8 1EA221B0
	v_mfma_f32_16x16x32_fp8_fp8 v[168:171], a[178:179], a[18:19], v[168:171]// 000000004C2C: D3F300A8 1EA225B2
	v_mfma_f32_16x16x32_fp8_fp8 v[168:171], a[180:181], a[20:21], v[168:171]// 000000004C34: D3F300A8 1EA229B4
	v_mfma_f32_16x16x32_fp8_fp8 v[168:171], a[182:183], a[22:23], v[168:171]// 000000004C3C: D3F300A8 1EA22DB6
	ds_read_b128 a[104:107], v2 offset:2048                    // 000000004C44: DBFE0800 68000002
	ds_read_b128 a[108:111], v2 offset:2112                    // 000000004C4C: DBFE0840 6C000002
	v_mfma_f32_16x16x32_fp8_fp8 v[204:207], a[184:185], a[16:17], v[204:207]// 000000004C54: D3F300CC 1F3221B8
	v_mfma_f32_16x16x32_fp8_fp8 v[204:207], a[186:187], a[18:19], v[204:207]// 000000004C5C: D3F300CC 1F3225BA
	v_mfma_f32_16x16x32_fp8_fp8 v[204:207], a[188:189], a[20:21], v[204:207]// 000000004C64: D3F300CC 1F3229BC
	v_mfma_f32_16x16x32_fp8_fp8 v[204:207], a[190:191], a[22:23], v[204:207]// 000000004C6C: D3F300CC 1F322DBE
	ds_read_b128 a[112:115], v2 offset:2560                    // 000000004C74: DBFE0A00 70000002
	ds_read_b128 a[116:119], v2 offset:2624                    // 000000004C7C: DBFE0A40 74000002
	v_mfma_f32_16x16x32_fp8_fp8 v[172:175], a[176:177], a[24:25], v[172:175]// 000000004C84: D3F300AC 1EB231B0
	v_mfma_f32_16x16x32_fp8_fp8 v[172:175], a[178:179], a[26:27], v[172:175]// 000000004C8C: D3F300AC 1EB235B2
	v_mfma_f32_16x16x32_fp8_fp8 v[172:175], a[180:181], a[28:29], v[172:175]// 000000004C94: D3F300AC 1EB239B4
	v_mfma_f32_16x16x32_fp8_fp8 v[172:175], a[182:183], a[30:31], v[172:175]// 000000004C9C: D3F300AC 1EB23DB6
	ds_read_b128 a[120:123], v2 offset:3072                    // 000000004CA4: DBFE0C00 78000002
	ds_read_b128 a[124:127], v2 offset:3136                    // 000000004CAC: DBFE0C40 7C000002
	v_mfma_f32_16x16x32_fp8_fp8 v[208:211], a[184:185], a[24:25], v[208:211]// 000000004CB4: D3F300D0 1F4231B8
	v_mfma_f32_16x16x32_fp8_fp8 v[208:211], a[186:187], a[26:27], v[208:211]// 000000004CBC: D3F300D0 1F4235BA
	v_mfma_f32_16x16x32_fp8_fp8 v[208:211], a[188:189], a[28:29], v[208:211]// 000000004CC4: D3F300D0 1F4239BC
	v_mfma_f32_16x16x32_fp8_fp8 v[208:211], a[190:191], a[30:31], v[208:211]// 000000004CCC: D3F300D0 1F423DBE
	ds_read_b128 a[128:131], v2 offset:3584                    // 000000004CD4: DBFE0E00 80000002
	ds_read_b128 a[132:135], v2 offset:3648                    // 000000004CDC: DBFE0E40 84000002
	v_mfma_f32_16x16x32_fp8_fp8 v[176:179], a[176:177], a[32:33], v[176:179]// 000000004CE4: D3F300B0 1EC241B0
	v_mfma_f32_16x16x32_fp8_fp8 v[176:179], a[178:179], a[34:35], v[176:179]// 000000004CEC: D3F300B0 1EC245B2
	v_mfma_f32_16x16x32_fp8_fp8 v[176:179], a[180:181], a[36:37], v[176:179]// 000000004CF4: D3F300B0 1EC249B4
	v_mfma_f32_16x16x32_fp8_fp8 v[176:179], a[182:183], a[38:39], v[176:179]// 000000004CFC: D3F300B0 1EC24DB6
	ds_read_b128 a[136:139], v2 offset:4096                    // 000000004D04: DBFE1000 88000002
	ds_read_b128 a[140:143], v2 offset:4160                    // 000000004D0C: DBFE1040 8C000002
	v_mfma_f32_16x16x32_fp8_fp8 v[212:215], a[184:185], a[32:33], v[212:215]// 000000004D14: D3F300D4 1F5241B8
	v_mfma_f32_16x16x32_fp8_fp8 v[212:215], a[186:187], a[34:35], v[212:215]// 000000004D1C: D3F300D4 1F5245BA
	v_mfma_f32_16x16x32_fp8_fp8 v[212:215], a[188:189], a[36:37], v[212:215]// 000000004D24: D3F300D4 1F5249BC
	v_mfma_f32_16x16x32_fp8_fp8 v[212:215], a[190:191], a[38:39], v[212:215]// 000000004D2C: D3F300D4 1F524DBE
	v_mfma_f32_16x16x32_fp8_fp8 v[180:183], a[176:177], a[40:41], v[180:183]// 000000004D34: D3F300B4 1ED251B0
	v_mfma_f32_16x16x32_fp8_fp8 v[180:183], a[178:179], a[42:43], v[180:183]// 000000004D3C: D3F300B4 1ED255B2
	v_mfma_f32_16x16x32_fp8_fp8 v[180:183], a[180:181], a[44:45], v[180:183]// 000000004D44: D3F300B4 1ED259B4
	v_mfma_f32_16x16x32_fp8_fp8 v[180:183], a[182:183], a[46:47], v[180:183]// 000000004D4C: D3F300B4 1ED25DB6
	v_mfma_f32_16x16x32_fp8_fp8 v[216:219], a[184:185], a[40:41], v[216:219]// 000000004D54: D3F300D8 1F6251B8
	v_mfma_f32_16x16x32_fp8_fp8 v[216:219], a[186:187], a[42:43], v[216:219]// 000000004D5C: D3F300D8 1F6255BA
	v_mfma_f32_16x16x32_fp8_fp8 v[216:219], a[188:189], a[44:45], v[216:219]// 000000004D64: D3F300D8 1F6259BC
	v_mfma_f32_16x16x32_fp8_fp8 v[216:219], a[190:191], a[46:47], v[216:219]// 000000004D6C: D3F300D8 1F625DBE
	v_mfma_f32_16x16x32_fp8_fp8 v[184:187], a[176:177], a[48:49], v[184:187]// 000000004D74: D3F300B8 1EE261B0
	v_mfma_f32_16x16x32_fp8_fp8 v[184:187], a[178:179], a[50:51], v[184:187]// 000000004D7C: D3F300B8 1EE265B2
	v_mfma_f32_16x16x32_fp8_fp8 v[184:187], a[180:181], a[52:53], v[184:187]// 000000004D84: D3F300B8 1EE269B4
	v_mfma_f32_16x16x32_fp8_fp8 v[184:187], a[182:183], a[54:55], v[184:187]// 000000004D8C: D3F300B8 1EE26DB6
	v_mfma_f32_16x16x32_fp8_fp8 v[220:223], a[184:185], a[48:49], v[220:223]// 000000004D94: D3F300DC 1F7261B8
	v_mfma_f32_16x16x32_fp8_fp8 v[220:223], a[186:187], a[50:51], v[220:223]// 000000004D9C: D3F300DC 1F7265BA
	v_mfma_f32_16x16x32_fp8_fp8 v[220:223], a[188:189], a[52:53], v[220:223]// 000000004DA4: D3F300DC 1F7269BC
	v_mfma_f32_16x16x32_fp8_fp8 v[220:223], a[190:191], a[54:55], v[220:223]// 000000004DAC: D3F300DC 1F726DBE
	v_mfma_f32_16x16x32_fp8_fp8 v[188:191], a[176:177], a[56:57], v[188:191]// 000000004DB4: D3F300BC 1EF271B0
	v_mfma_f32_16x16x32_fp8_fp8 v[188:191], a[178:179], a[58:59], v[188:191]// 000000004DBC: D3F300BC 1EF275B2
	v_mfma_f32_16x16x32_fp8_fp8 v[188:191], a[180:181], a[60:61], v[188:191]// 000000004DC4: D3F300BC 1EF279B4
	v_mfma_f32_16x16x32_fp8_fp8 v[188:191], a[182:183], a[62:63], v[188:191]// 000000004DCC: D3F300BC 1EF27DB6
	v_mfma_f32_16x16x32_fp8_fp8 v[224:227], a[184:185], a[56:57], v[224:227]// 000000004DD4: D3F300E0 1F8271B8
	v_mfma_f32_16x16x32_fp8_fp8 v[224:227], a[186:187], a[58:59], v[224:227]// 000000004DDC: D3F300E0 1F8275BA
	v_mfma_f32_16x16x32_fp8_fp8 v[224:227], a[188:189], a[60:61], v[224:227]// 000000004DE4: D3F300E0 1F8279BC
	v_mfma_f32_16x16x32_fp8_fp8 v[224:227], a[190:191], a[62:63], v[224:227]// 000000004DEC: D3F300E0 1F827DBE
	v_mfma_f32_16x16x32_fp8_fp8 v[192:195], a[176:177], a[64:65], v[192:195]// 000000004DF4: D3F300C0 1F0281B0
	s_add_u32 s60, 0x180, s80                                  // 000000004DFC: 803C50FF 00000180
	s_cmp_lt_u32 s60, s81                                      // 000000004E04: BF0A513C
	s_cselect_b32 s57, s57, 0                                  // 000000004E08: 85398039
	v_mfma_f32_16x16x32_fp8_fp8 v[192:195], a[178:179], a[66:67], v[192:195]// 000000004E0C: D3F300C0 1F0285B2
	s_add_u32 s60, 0x100, s80                                  // 000000004E14: 803C50FF 00000100
	s_cmp_lt_u32 s60, s81                                      // 000000004E1C: BF0A513C
	s_cselect_b32 s58, s58, 0                                  // 000000004E20: 853A803A
	v_mfma_f32_16x16x32_fp8_fp8 v[192:195], a[180:181], a[68:69], v[192:195]// 000000004E24: D3F300C0 1F0289B4
	s_add_u32 s60, 0x100, s80                                  // 000000004E2C: 803C50FF 00000100
	s_cmp_lt_u32 s60, s81                                      // 000000004E34: BF0A513C
	s_cselect_b32 s83, s83, 0                                  // 000000004E38: 85538053
	v_mfma_f32_16x16x32_fp8_fp8 v[192:195], a[182:183], a[70:71], v[192:195]// 000000004E3C: D3F300C0 1F028DB6
	s_add_u32 s24, s58, s24                                    // 000000004E44: 8018183A
	s_addc_u32 s25, 0, s25                                     // 000000004E48: 82191980
	v_mfma_f32_16x16x32_fp8_fp8 v[228:231], a[184:185], a[64:65], v[228:231]// 000000004E4C: D3F300E4 1F9281B8
	s_add_u32 s20, s57, s20                                    // 000000004E54: 80141439
	s_addc_u32 s21, 0, s21                                     // 000000004E58: 82151580
	v_mfma_f32_16x16x32_fp8_fp8 v[228:231], a[186:187], a[66:67], v[228:231]// 000000004E5C: D3F300E4 1F9285BA
	s_add_u32 s84, s83, s84                                    // 000000004E64: 80545453
	s_addc_u32 s85, 0, s85                                     // 000000004E68: 82555580
	v_mfma_f32_16x16x32_fp8_fp8 v[228:231], a[188:189], a[68:69], v[228:231]// 000000004E6C: D3F300E4 1F9289BC
	v_mfma_f32_16x16x32_fp8_fp8 v[228:231], a[190:191], a[70:71], v[228:231]// 000000004E74: D3F300E4 1F928DBE
	s_addk_i32 s80, 0x80                                       // 000000004E7C: B7500080
	s_cmp_lt_i32 s80, s81                                      // 000000004E80: BF045150
	s_cbranch_scc0 label_0E3C                                  // 000000004E84: BF84051A
	s_waitcnt vmcnt(22) lgkmcnt(0)                             // 000000004E88: BF8C4076
	v_mfma_f32_16x16x32_fp8_fp8 v[88:91], a[144:145], a[72:73], v[88:91]// 000000004E8C: D3F30058 1D629190
	v_mfma_f32_16x16x32_fp8_fp8 v[88:91], a[146:147], a[74:75], v[88:91]// 000000004E94: D3F30058 1D629592
	buffer_load_dwordx4 a[176:179], v84, s[24:27], 0 offen     // 000000004E9C: E05C1000 8086B054
	v_mfma_f32_16x16x32_fp8_fp8 v[88:91], a[148:149], a[76:77], v[88:91]// 000000004EA4: D3F30058 1D629994
	v_mfma_f32_16x16x32_fp8_fp8 v[88:91], a[150:151], a[78:79], v[88:91]// 000000004EAC: D3F30058 1D629D96
	v_mfma_f32_16x16x32_fp8_fp8 v[124:127], a[152:153], a[72:73], v[124:127]// 000000004EB4: D3F3007C 1DF29198
	v_mfma_f32_16x16x32_fp8_fp8 v[124:127], a[154:155], a[74:75], v[124:127]// 000000004EBC: D3F3007C 1DF2959A
	buffer_load_dwordx4 a[180:183], v84, s[24:27], 0 offen offset:1024// 000000004EC4: E05C1400 8086B454
	v_mfma_f32_16x16x32_fp8_fp8 v[124:127], a[156:157], a[76:77], v[124:127]// 000000004ECC: D3F3007C 1DF2999C
	v_mfma_f32_16x16x32_fp8_fp8 v[124:127], a[158:159], a[78:79], v[124:127]// 000000004ED4: D3F3007C 1DF29D9E
	v_mfma_f32_16x16x32_fp8_fp8 v[92:95], a[144:145], a[80:81], v[92:95]// 000000004EDC: D3F3005C 1D72A190
	v_mfma_f32_16x16x32_fp8_fp8 v[92:95], a[146:147], a[82:83], v[92:95]// 000000004EE4: D3F3005C 1D72A592
	buffer_load_dwordx4 a[184:187], v85, s[24:27], 0 offen     // 000000004EEC: E05C1000 8086B855
	v_mfma_f32_16x16x32_fp8_fp8 v[92:95], a[148:149], a[84:85], v[92:95]// 000000004EF4: D3F3005C 1D72A994
	v_mfma_f32_16x16x32_fp8_fp8 v[92:95], a[150:151], a[86:87], v[92:95]// 000000004EFC: D3F3005C 1D72AD96
	v_mfma_f32_16x16x32_fp8_fp8 v[128:131], a[152:153], a[80:81], v[128:131]// 000000004F04: D3F30080 1E02A198
	v_mfma_f32_16x16x32_fp8_fp8 v[128:131], a[154:155], a[82:83], v[128:131]// 000000004F0C: D3F30080 1E02A59A
	buffer_load_dwordx4 a[188:191], v85, s[24:27], 0 offen offset:1024// 000000004F14: E05C1400 8086BC55
	buffer_load_dword v66, s[20:23], 0 offen lds               // 000000004F1C: E0511000 80050042
	s_add_u32 m0, 0x100, s50                                   // 000000004F24: 807C32FF 00000100
	v_mfma_f32_16x16x32_fp8_fp8 v[128:131], a[156:157], a[84:85], v[128:131]// 000000004F2C: D3F30080 1E02A99C
	v_mfma_f32_16x16x32_fp8_fp8 v[128:131], a[158:159], a[86:87], v[128:131]// 000000004F34: D3F30080 1E02AD9E
	buffer_load_dword v67, s[20:23], 0 offen lds               // 000000004F3C: E0511000 80050043
	s_add_u32 m0, 0x200, s50                                   // 000000004F44: 807C32FF 00000200
	v_mfma_f32_16x16x32_fp8_fp8 v[96:99], a[144:145], a[88:89], v[96:99]// 000000004F4C: D3F30060 1D82B190
	v_mfma_f32_16x16x32_fp8_fp8 v[96:99], a[146:147], a[90:91], v[96:99]// 000000004F54: D3F30060 1D82B592
	buffer_load_dword v68, s[20:23], 0 offen lds               // 000000004F5C: E0511000 80050044
	s_add_u32 m0, 0x300, s50                                   // 000000004F64: 807C32FF 00000300
	v_mfma_f32_16x16x32_fp8_fp8 v[96:99], a[148:149], a[92:93], v[96:99]// 000000004F6C: D3F30060 1D82B994
	v_mfma_f32_16x16x32_fp8_fp8 v[96:99], a[150:151], a[94:95], v[96:99]// 000000004F74: D3F30060 1D82BD96
	buffer_load_dword v69, s[20:23], 0 offen lds               // 000000004F7C: E0511000 80050045
	s_add_u32 m0, 0x400, s50                                   // 000000004F84: 807C32FF 00000400
	v_mfma_f32_16x16x32_fp8_fp8 v[132:135], a[152:153], a[88:89], v[132:135]// 000000004F8C: D3F30084 1E12B198
	v_mfma_f32_16x16x32_fp8_fp8 v[132:135], a[154:155], a[90:91], v[132:135]// 000000004F94: D3F30084 1E12B59A
	buffer_load_dword v70, s[20:23], 0 offen lds               // 000000004F9C: E0511000 80050046
	s_add_u32 m0, 0x500, s50                                   // 000000004FA4: 807C32FF 00000500
	v_mfma_f32_16x16x32_fp8_fp8 v[132:135], a[156:157], a[92:93], v[132:135]// 000000004FAC: D3F30084 1E12B99C
	v_mfma_f32_16x16x32_fp8_fp8 v[132:135], a[158:159], a[94:95], v[132:135]// 000000004FB4: D3F30084 1E12BD9E
	buffer_load_dword v71, s[20:23], 0 offen lds               // 000000004FBC: E0511000 80050047
	s_add_u32 m0, 0x600, s50                                   // 000000004FC4: 807C32FF 00000600
	v_mfma_f32_16x16x32_fp8_fp8 v[100:103], a[144:145], a[96:97], v[100:103]// 000000004FCC: D3F30064 1D92C190
	v_mfma_f32_16x16x32_fp8_fp8 v[100:103], a[146:147], a[98:99], v[100:103]// 000000004FD4: D3F30064 1D92C592
	buffer_load_dword v72, s[20:23], 0 offen lds               // 000000004FDC: E0511000 80050048
	s_add_u32 m0, 0x700, s50                                   // 000000004FE4: 807C32FF 00000700
	v_mfma_f32_16x16x32_fp8_fp8 v[100:103], a[148:149], a[100:101], v[100:103]// 000000004FEC: D3F30064 1D92C994
	v_mfma_f32_16x16x32_fp8_fp8 v[100:103], a[150:151], a[102:103], v[100:103]// 000000004FF4: D3F30064 1D92CD96
	buffer_load_dword v73, s[20:23], 0 offen lds               // 000000004FFC: E0511000 80050049
	s_add_u32 m0, 0x800, s50                                   // 000000005004: 807C32FF 00000800
	v_mfma_f32_16x16x32_fp8_fp8 v[136:139], a[152:153], a[96:97], v[136:139]// 00000000500C: D3F30088 1E22C198
	v_mfma_f32_16x16x32_fp8_fp8 v[136:139], a[154:155], a[98:99], v[136:139]// 000000005014: D3F30088 1E22C59A
	buffer_load_dword v74, s[20:23], 0 offen lds               // 00000000501C: E0511000 8005004A
	s_add_u32 m0, 0x900, s50                                   // 000000005024: 807C32FF 00000900
	v_mfma_f32_16x16x32_fp8_fp8 v[136:139], a[156:157], a[100:101], v[136:139]// 00000000502C: D3F30088 1E22C99C
	v_mfma_f32_16x16x32_fp8_fp8 v[136:139], a[158:159], a[102:103], v[136:139]// 000000005034: D3F30088 1E22CD9E
	buffer_load_dword v75, s[20:23], 0 offen lds               // 00000000503C: E0511000 8005004B
	s_add_u32 m0, 0xa00, s50                                   // 000000005044: 807C32FF 00000A00
	v_mfma_f32_16x16x32_fp8_fp8 v[104:107], a[144:145], a[104:105], v[104:107]// 00000000504C: D3F30068 1DA2D190
	v_mfma_f32_16x16x32_fp8_fp8 v[104:107], a[146:147], a[106:107], v[104:107]// 000000005054: D3F30068 1DA2D592
	buffer_load_dword v76, s[20:23], 0 offen lds               // 00000000505C: E0511000 8005004C
	s_add_u32 m0, 0xb00, s50                                   // 000000005064: 807C32FF 00000B00
	v_mfma_f32_16x16x32_fp8_fp8 v[104:107], a[148:149], a[108:109], v[104:107]// 00000000506C: D3F30068 1DA2D994
	v_mfma_f32_16x16x32_fp8_fp8 v[104:107], a[150:151], a[110:111], v[104:107]// 000000005074: D3F30068 1DA2DD96
	buffer_load_dword v77, s[20:23], 0 offen lds               // 00000000507C: E0511000 8005004D
	s_add_u32 m0, 0xc00, s50                                   // 000000005084: 807C32FF 00000C00
	v_mfma_f32_16x16x32_fp8_fp8 v[140:143], a[152:153], a[104:105], v[140:143]// 00000000508C: D3F3008C 1E32D198
	v_mfma_f32_16x16x32_fp8_fp8 v[140:143], a[154:155], a[106:107], v[140:143]// 000000005094: D3F3008C 1E32D59A
	buffer_load_dword v78, s[20:23], 0 offen lds               // 00000000509C: E0511000 8005004E
	s_add_u32 m0, 0xd00, s50                                   // 0000000050A4: 807C32FF 00000D00
	v_mfma_f32_16x16x32_fp8_fp8 v[140:143], a[156:157], a[108:109], v[140:143]// 0000000050AC: D3F3008C 1E32D99C
	v_mfma_f32_16x16x32_fp8_fp8 v[140:143], a[158:159], a[110:111], v[140:143]// 0000000050B4: D3F3008C 1E32DD9E
	buffer_load_dword v79, s[20:23], 0 offen lds               // 0000000050BC: E0511000 8005004F
	s_add_u32 m0, 0xe00, s50                                   // 0000000050C4: 807C32FF 00000E00
	v_mfma_f32_16x16x32_fp8_fp8 v[108:111], a[144:145], a[112:113], v[108:111]// 0000000050CC: D3F3006C 1DB2E190
	v_mfma_f32_16x16x32_fp8_fp8 v[108:111], a[146:147], a[114:115], v[108:111]// 0000000050D4: D3F3006C 1DB2E592
	buffer_load_dword v80, s[20:23], 0 offen lds               // 0000000050DC: E0511000 80050050
	s_add_u32 m0, 0xf00, s50                                   // 0000000050E4: 807C32FF 00000F00
	v_mfma_f32_16x16x32_fp8_fp8 v[108:111], a[148:149], a[116:117], v[108:111]// 0000000050EC: D3F3006C 1DB2E994
	v_mfma_f32_16x16x32_fp8_fp8 v[108:111], a[150:151], a[118:119], v[108:111]// 0000000050F4: D3F3006C 1DB2ED96
	buffer_load_dword v81, s[20:23], 0 offen lds               // 0000000050FC: E0511000 80050051
	s_add_u32 m0, 0x1000, s50                                  // 000000005104: 807C32FF 00001000
	v_mfma_f32_16x16x32_fp8_fp8 v[144:147], a[152:153], a[112:113], v[144:147]// 00000000510C: D3F30090 1E42E198
	v_mfma_f32_16x16x32_fp8_fp8 v[144:147], a[154:155], a[114:115], v[144:147]// 000000005114: D3F30090 1E42E59A
	buffer_load_dword v82, s[20:23], 0 offen lds               // 00000000511C: E0511000 80050052
	s_add_u32 m0, 0x1100, s50                                  // 000000005124: 807C32FF 00001100
	v_mfma_f32_16x16x32_fp8_fp8 v[144:147], a[156:157], a[116:117], v[144:147]// 00000000512C: D3F30090 1E42E99C
	v_mfma_f32_16x16x32_fp8_fp8 v[144:147], a[158:159], a[118:119], v[144:147]// 000000005134: D3F30090 1E42ED9E
	buffer_load_dword v83, s[20:23], 0 offen lds               // 00000000513C: E0511000 80050053
	s_add_u32 m0, 0, s48                                       // 000000005144: 807C3080
	v_mfma_f32_16x16x32_fp8_fp8 v[112:115], a[144:145], a[120:121], v[112:115]// 000000005148: D3F30070 1DC2F190
	v_mfma_f32_16x16x32_fp8_fp8 v[112:115], a[146:147], a[122:123], v[112:115]// 000000005150: D3F30070 1DC2F592
	v_mfma_f32_16x16x32_fp8_fp8 v[112:115], a[148:149], a[124:125], v[112:115]// 000000005158: D3F30070 1DC2F994
	v_mfma_f32_16x16x32_fp8_fp8 v[112:115], a[150:151], a[126:127], v[112:115]// 000000005160: D3F30070 1DC2FD96
	v_mfma_f32_16x16x32_fp8_fp8 v[148:151], a[152:153], a[120:121], v[148:151]// 000000005168: D3F30094 1E52F198
	v_mfma_f32_16x16x32_fp8_fp8 v[148:151], a[154:155], a[122:123], v[148:151]// 000000005170: D3F30094 1E52F59A
	v_mfma_f32_16x16x32_fp8_fp8 v[148:151], a[156:157], a[124:125], v[148:151]// 000000005178: D3F30094 1E52F99C
	v_mfma_f32_16x16x32_fp8_fp8 v[148:151], a[158:159], a[126:127], v[148:151]// 000000005180: D3F30094 1E52FD9E
	v_mfma_f32_16x16x32_fp8_fp8 v[116:119], a[144:145], a[128:129], v[116:119]// 000000005188: D3F30074 1DD30190
	v_mfma_f32_16x16x32_fp8_fp8 v[116:119], a[146:147], a[130:131], v[116:119]// 000000005190: D3F30074 1DD30592
	v_mfma_f32_16x16x32_fp8_fp8 v[116:119], a[148:149], a[132:133], v[116:119]// 000000005198: D3F30074 1DD30994
	v_mfma_f32_16x16x32_fp8_fp8 v[116:119], a[150:151], a[134:135], v[116:119]// 0000000051A0: D3F30074 1DD30D96
	v_mfma_f32_16x16x32_fp8_fp8 v[152:155], a[152:153], a[128:129], v[152:155]// 0000000051A8: D3F30098 1E630198
	v_mfma_f32_16x16x32_fp8_fp8 v[152:155], a[154:155], a[130:131], v[152:155]// 0000000051B0: D3F30098 1E63059A
	v_mfma_f32_16x16x32_fp8_fp8 v[152:155], a[156:157], a[132:133], v[152:155]// 0000000051B8: D3F30098 1E63099C
	v_mfma_f32_16x16x32_fp8_fp8 v[152:155], a[158:159], a[134:135], v[152:155]// 0000000051C0: D3F30098 1E630D9E
	v_mfma_f32_16x16x32_fp8_fp8 v[120:123], a[144:145], a[136:137], v[120:123]// 0000000051C8: D3F30078 1DE31190
	v_mfma_f32_16x16x32_fp8_fp8 v[120:123], a[146:147], a[138:139], v[120:123]// 0000000051D0: D3F30078 1DE31592
	v_mfma_f32_16x16x32_fp8_fp8 v[120:123], a[148:149], a[140:141], v[120:123]// 0000000051D8: D3F30078 1DE31994
	v_mfma_f32_16x16x32_fp8_fp8 v[120:123], a[150:151], a[142:143], v[120:123]// 0000000051E0: D3F30078 1DE31D96
	v_mfma_f32_16x16x32_fp8_fp8 v[156:159], a[152:153], a[136:137], v[156:159]// 0000000051E8: D3F3009C 1E731198
	v_mfma_f32_16x16x32_fp8_fp8 v[156:159], a[154:155], a[138:139], v[156:159]// 0000000051F0: D3F3009C 1E73159A
	v_mfma_f32_16x16x32_fp8_fp8 v[156:159], a[156:157], a[140:141], v[156:159]// 0000000051F8: D3F3009C 1E73199C
	v_mfma_f32_16x16x32_fp8_fp8 v[156:159], a[158:159], a[142:143], v[156:159]// 000000005200: D3F3009C 1E731D9E
	s_waitcnt vmcnt(22)                                        // 000000005208: BF8C4F76
	s_barrier                                                  // 00000000520C: BF8A0000
	v_mfma_f32_16x16x32_fp8_fp8 v[160:163], a[160:161], a[72:73], v[160:163]// 000000005210: D3F300A0 1E8291A0
	v_mfma_f32_16x16x32_fp8_fp8 v[160:163], a[162:163], a[74:75], v[160:163]// 000000005218: D3F300A0 1E8295A2
	buffer_load_dwordx4 a[144:147], v84, s[84:87], 0 offen     // 000000005220: E05C1000 80959054
	v_mfma_f32_16x16x32_fp8_fp8 v[160:163], a[164:165], a[76:77], v[160:163]// 000000005228: D3F300A0 1E8299A4
	v_mfma_f32_16x16x32_fp8_fp8 v[160:163], a[166:167], a[78:79], v[160:163]// 000000005230: D3F300A0 1E829DA6
	ds_read_b128 a[0:3], v2 offset:18560                       // 000000005238: DBFE4880 00000002
	ds_read_b128 a[4:7], v2 offset:18624                       // 000000005240: DBFE48C0 04000002
	v_mfma_f32_16x16x32_fp8_fp8 v[196:199], a[168:169], a[72:73], v[196:199]// 000000005248: D3F300C4 1F1291A8
	v_mfma_f32_16x16x32_fp8_fp8 v[196:199], a[170:171], a[74:75], v[196:199]// 000000005250: D3F300C4 1F1295AA
	buffer_load_dwordx4 a[148:151], v84, s[84:87], 0 offen offset:1024// 000000005258: E05C1400 80959454
	v_mfma_f32_16x16x32_fp8_fp8 v[196:199], a[172:173], a[76:77], v[196:199]// 000000005260: D3F300C4 1F1299AC
	v_mfma_f32_16x16x32_fp8_fp8 v[196:199], a[174:175], a[78:79], v[196:199]// 000000005268: D3F300C4 1F129DAE
	ds_read_b128 a[8:11], v2 offset:19072                      // 000000005270: DBFE4A80 08000002
	ds_read_b128 a[12:15], v2 offset:19136                     // 000000005278: DBFE4AC0 0C000002
	v_mfma_f32_16x16x32_fp8_fp8 v[164:167], a[160:161], a[80:81], v[164:167]// 000000005280: D3F300A4 1E92A1A0
	v_mfma_f32_16x16x32_fp8_fp8 v[164:167], a[162:163], a[82:83], v[164:167]// 000000005288: D3F300A4 1E92A5A2
	buffer_load_dwordx4 a[152:155], v85, s[84:87], 0 offen     // 000000005290: E05C1000 80959855
	v_mfma_f32_16x16x32_fp8_fp8 v[164:167], a[164:165], a[84:85], v[164:167]// 000000005298: D3F300A4 1E92A9A4
	v_mfma_f32_16x16x32_fp8_fp8 v[164:167], a[166:167], a[86:87], v[164:167]// 0000000052A0: D3F300A4 1E92ADA6
	ds_read_b128 a[16:19], v2 offset:19584                     // 0000000052A8: DBFE4C80 10000002
	ds_read_b128 a[20:23], v2 offset:19648                     // 0000000052B0: DBFE4CC0 14000002
	v_mfma_f32_16x16x32_fp8_fp8 v[200:203], a[168:169], a[80:81], v[200:203]// 0000000052B8: D3F300C8 1F22A1A8
	v_mfma_f32_16x16x32_fp8_fp8 v[200:203], a[170:171], a[82:83], v[200:203]// 0000000052C0: D3F300C8 1F22A5AA
	buffer_load_dwordx4 a[156:159], v85, s[84:87], 0 offen offset:1024// 0000000052C8: E05C1400 80959C55
	v_mfma_f32_16x16x32_fp8_fp8 v[200:203], a[172:173], a[84:85], v[200:203]// 0000000052D0: D3F300C8 1F22A9AC
	v_mfma_f32_16x16x32_fp8_fp8 v[200:203], a[174:175], a[86:87], v[200:203]// 0000000052D8: D3F300C8 1F22ADAE
	ds_read_b128 a[24:27], v2 offset:20096                     // 0000000052E0: DBFE4E80 18000002
	ds_read_b128 a[28:31], v2 offset:20160                     // 0000000052E8: DBFE4EC0 1C000002
	v_mfma_f32_16x16x32_fp8_fp8 v[168:171], a[160:161], a[88:89], v[168:171]// 0000000052F0: D3F300A8 1EA2B1A0
	v_mfma_f32_16x16x32_fp8_fp8 v[168:171], a[162:163], a[90:91], v[168:171]// 0000000052F8: D3F300A8 1EA2B5A2
	v_mfma_f32_16x16x32_fp8_fp8 v[168:171], a[164:165], a[92:93], v[168:171]// 000000005300: D3F300A8 1EA2B9A4
	v_mfma_f32_16x16x32_fp8_fp8 v[168:171], a[166:167], a[94:95], v[168:171]// 000000005308: D3F300A8 1EA2BDA6
	ds_read_b128 a[32:35], v2 offset:20608                     // 000000005310: DBFE5080 20000002
	ds_read_b128 a[36:39], v2 offset:20672                     // 000000005318: DBFE50C0 24000002
	v_mfma_f32_16x16x32_fp8_fp8 v[204:207], a[168:169], a[88:89], v[204:207]// 000000005320: D3F300CC 1F32B1A8
	v_mfma_f32_16x16x32_fp8_fp8 v[204:207], a[170:171], a[90:91], v[204:207]// 000000005328: D3F300CC 1F32B5AA
	v_mfma_f32_16x16x32_fp8_fp8 v[204:207], a[172:173], a[92:93], v[204:207]// 000000005330: D3F300CC 1F32B9AC
	v_mfma_f32_16x16x32_fp8_fp8 v[204:207], a[174:175], a[94:95], v[204:207]// 000000005338: D3F300CC 1F32BDAE
	ds_read_b128 a[40:43], v2 offset:21120                     // 000000005340: DBFE5280 28000002
	ds_read_b128 a[44:47], v2 offset:21184                     // 000000005348: DBFE52C0 2C000002
	v_mfma_f32_16x16x32_fp8_fp8 v[172:175], a[160:161], a[96:97], v[172:175]// 000000005350: D3F300AC 1EB2C1A0
	v_mfma_f32_16x16x32_fp8_fp8 v[172:175], a[162:163], a[98:99], v[172:175]// 000000005358: D3F300AC 1EB2C5A2
	v_mfma_f32_16x16x32_fp8_fp8 v[172:175], a[164:165], a[100:101], v[172:175]// 000000005360: D3F300AC 1EB2C9A4
	v_mfma_f32_16x16x32_fp8_fp8 v[172:175], a[166:167], a[102:103], v[172:175]// 000000005368: D3F300AC 1EB2CDA6
	ds_read_b128 a[48:51], v2 offset:21632                     // 000000005370: DBFE5480 30000002
	ds_read_b128 a[52:55], v2 offset:21696                     // 000000005378: DBFE54C0 34000002
	v_mfma_f32_16x16x32_fp8_fp8 v[208:211], a[168:169], a[96:97], v[208:211]// 000000005380: D3F300D0 1F42C1A8
	v_mfma_f32_16x16x32_fp8_fp8 v[208:211], a[170:171], a[98:99], v[208:211]// 000000005388: D3F300D0 1F42C5AA
	v_mfma_f32_16x16x32_fp8_fp8 v[208:211], a[172:173], a[100:101], v[208:211]// 000000005390: D3F300D0 1F42C9AC
	v_mfma_f32_16x16x32_fp8_fp8 v[208:211], a[174:175], a[102:103], v[208:211]// 000000005398: D3F300D0 1F42CDAE
	ds_read_b128 a[56:59], v2 offset:22144                     // 0000000053A0: DBFE5680 38000002
	ds_read_b128 a[60:63], v2 offset:22208                     // 0000000053A8: DBFE56C0 3C000002
	v_mfma_f32_16x16x32_fp8_fp8 v[176:179], a[160:161], a[104:105], v[176:179]// 0000000053B0: D3F300B0 1EC2D1A0
	v_mfma_f32_16x16x32_fp8_fp8 v[176:179], a[162:163], a[106:107], v[176:179]// 0000000053B8: D3F300B0 1EC2D5A2
	v_mfma_f32_16x16x32_fp8_fp8 v[176:179], a[164:165], a[108:109], v[176:179]// 0000000053C0: D3F300B0 1EC2D9A4
	v_mfma_f32_16x16x32_fp8_fp8 v[176:179], a[166:167], a[110:111], v[176:179]// 0000000053C8: D3F300B0 1EC2DDA6
	ds_read_b128 a[64:67], v2 offset:22656                     // 0000000053D0: DBFE5880 40000002
	ds_read_b128 a[68:71], v2 offset:22720                     // 0000000053D8: DBFE58C0 44000002
	v_mfma_f32_16x16x32_fp8_fp8 v[212:215], a[168:169], a[104:105], v[212:215]// 0000000053E0: D3F300D4 1F52D1A8
	v_mfma_f32_16x16x32_fp8_fp8 v[212:215], a[170:171], a[106:107], v[212:215]// 0000000053E8: D3F300D4 1F52D5AA
	v_mfma_f32_16x16x32_fp8_fp8 v[212:215], a[172:173], a[108:109], v[212:215]// 0000000053F0: D3F300D4 1F52D9AC
	v_mfma_f32_16x16x32_fp8_fp8 v[212:215], a[174:175], a[110:111], v[212:215]// 0000000053F8: D3F300D4 1F52DDAE
	v_mfma_f32_16x16x32_fp8_fp8 v[180:183], a[160:161], a[112:113], v[180:183]// 000000005400: D3F300B4 1ED2E1A0
	v_mfma_f32_16x16x32_fp8_fp8 v[180:183], a[162:163], a[114:115], v[180:183]// 000000005408: D3F300B4 1ED2E5A2
	v_mfma_f32_16x16x32_fp8_fp8 v[180:183], a[164:165], a[116:117], v[180:183]// 000000005410: D3F300B4 1ED2E9A4
	v_mfma_f32_16x16x32_fp8_fp8 v[180:183], a[166:167], a[118:119], v[180:183]// 000000005418: D3F300B4 1ED2EDA6
	v_mfma_f32_16x16x32_fp8_fp8 v[216:219], a[168:169], a[112:113], v[216:219]// 000000005420: D3F300D8 1F62E1A8
	v_mfma_f32_16x16x32_fp8_fp8 v[216:219], a[170:171], a[114:115], v[216:219]// 000000005428: D3F300D8 1F62E5AA
	v_mfma_f32_16x16x32_fp8_fp8 v[216:219], a[172:173], a[116:117], v[216:219]// 000000005430: D3F300D8 1F62E9AC
	v_mfma_f32_16x16x32_fp8_fp8 v[216:219], a[174:175], a[118:119], v[216:219]// 000000005438: D3F300D8 1F62EDAE
	v_mfma_f32_16x16x32_fp8_fp8 v[184:187], a[160:161], a[120:121], v[184:187]// 000000005440: D3F300B8 1EE2F1A0
	v_mfma_f32_16x16x32_fp8_fp8 v[184:187], a[162:163], a[122:123], v[184:187]// 000000005448: D3F300B8 1EE2F5A2
	v_mfma_f32_16x16x32_fp8_fp8 v[184:187], a[164:165], a[124:125], v[184:187]// 000000005450: D3F300B8 1EE2F9A4
	v_mfma_f32_16x16x32_fp8_fp8 v[184:187], a[166:167], a[126:127], v[184:187]// 000000005458: D3F300B8 1EE2FDA6
	v_mfma_f32_16x16x32_fp8_fp8 v[220:223], a[168:169], a[120:121], v[220:223]// 000000005460: D3F300DC 1F72F1A8
	v_mfma_f32_16x16x32_fp8_fp8 v[220:223], a[170:171], a[122:123], v[220:223]// 000000005468: D3F300DC 1F72F5AA
	v_mfma_f32_16x16x32_fp8_fp8 v[220:223], a[172:173], a[124:125], v[220:223]// 000000005470: D3F300DC 1F72F9AC
	v_mfma_f32_16x16x32_fp8_fp8 v[220:223], a[174:175], a[126:127], v[220:223]// 000000005478: D3F300DC 1F72FDAE
	v_mfma_f32_16x16x32_fp8_fp8 v[188:191], a[160:161], a[128:129], v[188:191]// 000000005480: D3F300BC 1EF301A0
	v_mfma_f32_16x16x32_fp8_fp8 v[188:191], a[162:163], a[130:131], v[188:191]// 000000005488: D3F300BC 1EF305A2
	v_mfma_f32_16x16x32_fp8_fp8 v[188:191], a[164:165], a[132:133], v[188:191]// 000000005490: D3F300BC 1EF309A4
	v_mfma_f32_16x16x32_fp8_fp8 v[188:191], a[166:167], a[134:135], v[188:191]// 000000005498: D3F300BC 1EF30DA6
	v_mfma_f32_16x16x32_fp8_fp8 v[224:227], a[168:169], a[128:129], v[224:227]// 0000000054A0: D3F300E0 1F8301A8
	v_mfma_f32_16x16x32_fp8_fp8 v[224:227], a[170:171], a[130:131], v[224:227]// 0000000054A8: D3F300E0 1F8305AA
	v_mfma_f32_16x16x32_fp8_fp8 v[224:227], a[172:173], a[132:133], v[224:227]// 0000000054B0: D3F300E0 1F8309AC
	v_mfma_f32_16x16x32_fp8_fp8 v[224:227], a[174:175], a[134:135], v[224:227]// 0000000054B8: D3F300E0 1F830DAE
	v_mfma_f32_16x16x32_fp8_fp8 v[192:195], a[160:161], a[136:137], v[192:195]// 0000000054C0: D3F300C0 1F0311A0
	s_add_u32 s60, 0x180, s80                                  // 0000000054C8: 803C50FF 00000180
	s_cmp_lt_u32 s60, s81                                      // 0000000054D0: BF0A513C
	s_cselect_b32 s57, s57, 0                                  // 0000000054D4: 85398039
	v_mfma_f32_16x16x32_fp8_fp8 v[192:195], a[162:163], a[138:139], v[192:195]// 0000000054D8: D3F300C0 1F0315A2
	s_add_u32 s60, 0x100, s80                                  // 0000000054E0: 803C50FF 00000100
	s_cmp_lt_u32 s60, s81                                      // 0000000054E8: BF0A513C
	s_cselect_b32 s58, s58, 0                                  // 0000000054EC: 853A803A
	v_mfma_f32_16x16x32_fp8_fp8 v[192:195], a[164:165], a[140:141], v[192:195]// 0000000054F0: D3F300C0 1F0319A4
	s_add_u32 s60, 0x100, s80                                  // 0000000054F8: 803C50FF 00000100
	s_cmp_lt_u32 s60, s81                                      // 000000005500: BF0A513C
	s_cselect_b32 s83, s83, 0                                  // 000000005504: 85538053
	v_mfma_f32_16x16x32_fp8_fp8 v[192:195], a[166:167], a[142:143], v[192:195]// 000000005508: D3F300C0 1F031DA6
	s_add_u32 s24, s58, s24                                    // 000000005510: 8018183A
	s_addc_u32 s25, 0, s25                                     // 000000005514: 82191980
	v_mfma_f32_16x16x32_fp8_fp8 v[228:231], a[168:169], a[136:137], v[228:231]// 000000005518: D3F300E4 1F9311A8
	s_add_u32 s20, s57, s20                                    // 000000005520: 80141439
	s_addc_u32 s21, 0, s21                                     // 000000005524: 82151580
	v_mfma_f32_16x16x32_fp8_fp8 v[228:231], a[170:171], a[138:139], v[228:231]// 000000005528: D3F300E4 1F9315AA
	s_add_u32 s84, s83, s84                                    // 000000005530: 80545453
	s_addc_u32 s85, 0, s85                                     // 000000005534: 82555580
	v_mfma_f32_16x16x32_fp8_fp8 v[228:231], a[172:173], a[140:141], v[228:231]// 000000005538: D3F300E4 1F9319AC
	v_mfma_f32_16x16x32_fp8_fp8 v[228:231], a[174:175], a[142:143], v[228:231]// 000000005540: D3F300E4 1F931DAE
	s_addk_i32 s80, 0x80                                       // 000000005548: B7500080
	s_cmp_lt_i32 s80, s81                                      // 00000000554C: BF045150
	s_cbranch_scc0 label_0E3C                                  // 000000005550: BF840367
	s_waitcnt vmcnt(22) lgkmcnt(0)                             // 000000005554: BF8C4076
	v_mfma_f32_16x16x32_fp8_fp8 v[88:91], a[176:177], a[0:1], v[88:91]// 000000005558: D3F30058 1D6201B0
	v_mfma_f32_16x16x32_fp8_fp8 v[88:91], a[178:179], a[2:3], v[88:91]// 000000005560: D3F30058 1D6205B2
	buffer_load_dwordx4 a[160:163], v84, s[24:27], 0 offen     // 000000005568: E05C1000 8086A054
	v_mfma_f32_16x16x32_fp8_fp8 v[88:91], a[180:181], a[4:5], v[88:91]// 000000005570: D3F30058 1D6209B4
	v_mfma_f32_16x16x32_fp8_fp8 v[88:91], a[182:183], a[6:7], v[88:91]// 000000005578: D3F30058 1D620DB6
	v_mfma_f32_16x16x32_fp8_fp8 v[124:127], a[184:185], a[0:1], v[124:127]// 000000005580: D3F3007C 1DF201B8
	v_mfma_f32_16x16x32_fp8_fp8 v[124:127], a[186:187], a[2:3], v[124:127]// 000000005588: D3F3007C 1DF205BA
	buffer_load_dwordx4 a[164:167], v84, s[24:27], 0 offen offset:1024// 000000005590: E05C1400 8086A454
	v_mfma_f32_16x16x32_fp8_fp8 v[124:127], a[188:189], a[4:5], v[124:127]// 000000005598: D3F3007C 1DF209BC
	v_mfma_f32_16x16x32_fp8_fp8 v[124:127], a[190:191], a[6:7], v[124:127]// 0000000055A0: D3F3007C 1DF20DBE
	v_mfma_f32_16x16x32_fp8_fp8 v[92:95], a[176:177], a[8:9], v[92:95]// 0000000055A8: D3F3005C 1D7211B0
	v_mfma_f32_16x16x32_fp8_fp8 v[92:95], a[178:179], a[10:11], v[92:95]// 0000000055B0: D3F3005C 1D7215B2
	buffer_load_dwordx4 a[168:171], v85, s[24:27], 0 offen     // 0000000055B8: E05C1000 8086A855
	v_mfma_f32_16x16x32_fp8_fp8 v[92:95], a[180:181], a[12:13], v[92:95]// 0000000055C0: D3F3005C 1D7219B4
	v_mfma_f32_16x16x32_fp8_fp8 v[92:95], a[182:183], a[14:15], v[92:95]// 0000000055C8: D3F3005C 1D721DB6
	v_mfma_f32_16x16x32_fp8_fp8 v[128:131], a[184:185], a[8:9], v[128:131]// 0000000055D0: D3F30080 1E0211B8
	v_mfma_f32_16x16x32_fp8_fp8 v[128:131], a[186:187], a[10:11], v[128:131]// 0000000055D8: D3F30080 1E0215BA
	buffer_load_dwordx4 a[172:175], v85, s[24:27], 0 offen offset:1024// 0000000055E0: E05C1400 8086AC55
	buffer_load_dword v66, s[20:23], 0 offen lds               // 0000000055E8: E0511000 80050042
	s_add_u32 m0, 0x100, s48                                   // 0000000055F0: 807C30FF 00000100
	v_mfma_f32_16x16x32_fp8_fp8 v[128:131], a[188:189], a[12:13], v[128:131]// 0000000055F8: D3F30080 1E0219BC
	v_mfma_f32_16x16x32_fp8_fp8 v[128:131], a[190:191], a[14:15], v[128:131]// 000000005600: D3F30080 1E021DBE
	buffer_load_dword v67, s[20:23], 0 offen lds               // 000000005608: E0511000 80050043
	s_add_u32 m0, 0x200, s48                                   // 000000005610: 807C30FF 00000200
	v_mfma_f32_16x16x32_fp8_fp8 v[96:99], a[176:177], a[16:17], v[96:99]// 000000005618: D3F30060 1D8221B0
	v_mfma_f32_16x16x32_fp8_fp8 v[96:99], a[178:179], a[18:19], v[96:99]// 000000005620: D3F30060 1D8225B2
	buffer_load_dword v68, s[20:23], 0 offen lds               // 000000005628: E0511000 80050044
	s_add_u32 m0, 0x300, s48                                   // 000000005630: 807C30FF 00000300
	v_mfma_f32_16x16x32_fp8_fp8 v[96:99], a[180:181], a[20:21], v[96:99]// 000000005638: D3F30060 1D8229B4
	v_mfma_f32_16x16x32_fp8_fp8 v[96:99], a[182:183], a[22:23], v[96:99]// 000000005640: D3F30060 1D822DB6
	buffer_load_dword v69, s[20:23], 0 offen lds               // 000000005648: E0511000 80050045
	s_add_u32 m0, 0x400, s48                                   // 000000005650: 807C30FF 00000400
	v_mfma_f32_16x16x32_fp8_fp8 v[132:135], a[184:185], a[16:17], v[132:135]// 000000005658: D3F30084 1E1221B8
	v_mfma_f32_16x16x32_fp8_fp8 v[132:135], a[186:187], a[18:19], v[132:135]// 000000005660: D3F30084 1E1225BA
	buffer_load_dword v70, s[20:23], 0 offen lds               // 000000005668: E0511000 80050046
	s_add_u32 m0, 0x500, s48                                   // 000000005670: 807C30FF 00000500
	v_mfma_f32_16x16x32_fp8_fp8 v[132:135], a[188:189], a[20:21], v[132:135]// 000000005678: D3F30084 1E1229BC
	v_mfma_f32_16x16x32_fp8_fp8 v[132:135], a[190:191], a[22:23], v[132:135]// 000000005680: D3F30084 1E122DBE
	buffer_load_dword v71, s[20:23], 0 offen lds               // 000000005688: E0511000 80050047
	s_add_u32 m0, 0x600, s48                                   // 000000005690: 807C30FF 00000600
	v_mfma_f32_16x16x32_fp8_fp8 v[100:103], a[176:177], a[24:25], v[100:103]// 000000005698: D3F30064 1D9231B0
	v_mfma_f32_16x16x32_fp8_fp8 v[100:103], a[178:179], a[26:27], v[100:103]// 0000000056A0: D3F30064 1D9235B2
	buffer_load_dword v72, s[20:23], 0 offen lds               // 0000000056A8: E0511000 80050048
	s_add_u32 m0, 0x700, s48                                   // 0000000056B0: 807C30FF 00000700
	v_mfma_f32_16x16x32_fp8_fp8 v[100:103], a[180:181], a[28:29], v[100:103]// 0000000056B8: D3F30064 1D9239B4
	v_mfma_f32_16x16x32_fp8_fp8 v[100:103], a[182:183], a[30:31], v[100:103]// 0000000056C0: D3F30064 1D923DB6
	buffer_load_dword v73, s[20:23], 0 offen lds               // 0000000056C8: E0511000 80050049
	s_add_u32 m0, 0x800, s48                                   // 0000000056D0: 807C30FF 00000800
	v_mfma_f32_16x16x32_fp8_fp8 v[136:139], a[184:185], a[24:25], v[136:139]// 0000000056D8: D3F30088 1E2231B8
	v_mfma_f32_16x16x32_fp8_fp8 v[136:139], a[186:187], a[26:27], v[136:139]// 0000000056E0: D3F30088 1E2235BA
	buffer_load_dword v74, s[20:23], 0 offen lds               // 0000000056E8: E0511000 8005004A
	s_add_u32 m0, 0x900, s48                                   // 0000000056F0: 807C30FF 00000900
	v_mfma_f32_16x16x32_fp8_fp8 v[136:139], a[188:189], a[28:29], v[136:139]// 0000000056F8: D3F30088 1E2239BC
	v_mfma_f32_16x16x32_fp8_fp8 v[136:139], a[190:191], a[30:31], v[136:139]// 000000005700: D3F30088 1E223DBE
	buffer_load_dword v75, s[20:23], 0 offen lds               // 000000005708: E0511000 8005004B
	s_add_u32 m0, 0xa00, s48                                   // 000000005710: 807C30FF 00000A00
	v_mfma_f32_16x16x32_fp8_fp8 v[104:107], a[176:177], a[32:33], v[104:107]// 000000005718: D3F30068 1DA241B0
	v_mfma_f32_16x16x32_fp8_fp8 v[104:107], a[178:179], a[34:35], v[104:107]// 000000005720: D3F30068 1DA245B2
	buffer_load_dword v76, s[20:23], 0 offen lds               // 000000005728: E0511000 8005004C
	s_add_u32 m0, 0xb00, s48                                   // 000000005730: 807C30FF 00000B00
	v_mfma_f32_16x16x32_fp8_fp8 v[104:107], a[180:181], a[36:37], v[104:107]// 000000005738: D3F30068 1DA249B4
	v_mfma_f32_16x16x32_fp8_fp8 v[104:107], a[182:183], a[38:39], v[104:107]// 000000005740: D3F30068 1DA24DB6
	buffer_load_dword v77, s[20:23], 0 offen lds               // 000000005748: E0511000 8005004D
	s_add_u32 m0, 0xc00, s48                                   // 000000005750: 807C30FF 00000C00
	v_mfma_f32_16x16x32_fp8_fp8 v[140:143], a[184:185], a[32:33], v[140:143]// 000000005758: D3F3008C 1E3241B8
	v_mfma_f32_16x16x32_fp8_fp8 v[140:143], a[186:187], a[34:35], v[140:143]// 000000005760: D3F3008C 1E3245BA
	buffer_load_dword v78, s[20:23], 0 offen lds               // 000000005768: E0511000 8005004E
	s_add_u32 m0, 0xd00, s48                                   // 000000005770: 807C30FF 00000D00
	v_mfma_f32_16x16x32_fp8_fp8 v[140:143], a[188:189], a[36:37], v[140:143]// 000000005778: D3F3008C 1E3249BC
	v_mfma_f32_16x16x32_fp8_fp8 v[140:143], a[190:191], a[38:39], v[140:143]// 000000005780: D3F3008C 1E324DBE
	buffer_load_dword v79, s[20:23], 0 offen lds               // 000000005788: E0511000 8005004F
	s_add_u32 m0, 0xe00, s48                                   // 000000005790: 807C30FF 00000E00
	v_mfma_f32_16x16x32_fp8_fp8 v[108:111], a[176:177], a[40:41], v[108:111]// 000000005798: D3F3006C 1DB251B0
	v_mfma_f32_16x16x32_fp8_fp8 v[108:111], a[178:179], a[42:43], v[108:111]// 0000000057A0: D3F3006C 1DB255B2
	buffer_load_dword v80, s[20:23], 0 offen lds               // 0000000057A8: E0511000 80050050
	s_add_u32 m0, 0xf00, s48                                   // 0000000057B0: 807C30FF 00000F00
	v_mfma_f32_16x16x32_fp8_fp8 v[108:111], a[180:181], a[44:45], v[108:111]// 0000000057B8: D3F3006C 1DB259B4
	v_mfma_f32_16x16x32_fp8_fp8 v[108:111], a[182:183], a[46:47], v[108:111]// 0000000057C0: D3F3006C 1DB25DB6
	buffer_load_dword v81, s[20:23], 0 offen lds               // 0000000057C8: E0511000 80050051
	s_add_u32 m0, 0x1000, s48                                  // 0000000057D0: 807C30FF 00001000
	v_mfma_f32_16x16x32_fp8_fp8 v[144:147], a[184:185], a[40:41], v[144:147]// 0000000057D8: D3F30090 1E4251B8
	v_mfma_f32_16x16x32_fp8_fp8 v[144:147], a[186:187], a[42:43], v[144:147]// 0000000057E0: D3F30090 1E4255BA
	buffer_load_dword v82, s[20:23], 0 offen lds               // 0000000057E8: E0511000 80050052
	s_add_u32 m0, 0x1100, s48                                  // 0000000057F0: 807C30FF 00001100
	v_mfma_f32_16x16x32_fp8_fp8 v[144:147], a[188:189], a[44:45], v[144:147]// 0000000057F8: D3F30090 1E4259BC
	v_mfma_f32_16x16x32_fp8_fp8 v[144:147], a[190:191], a[46:47], v[144:147]// 000000005800: D3F30090 1E425DBE
	buffer_load_dword v83, s[20:23], 0 offen lds               // 000000005808: E0511000 80050053
	s_add_u32 m0, 0, s49                                       // 000000005810: 807C3180
	v_mfma_f32_16x16x32_fp8_fp8 v[112:115], a[176:177], a[48:49], v[112:115]// 000000005814: D3F30070 1DC261B0
	v_mfma_f32_16x16x32_fp8_fp8 v[112:115], a[178:179], a[50:51], v[112:115]// 00000000581C: D3F30070 1DC265B2
	v_mfma_f32_16x16x32_fp8_fp8 v[112:115], a[180:181], a[52:53], v[112:115]// 000000005824: D3F30070 1DC269B4
	v_mfma_f32_16x16x32_fp8_fp8 v[112:115], a[182:183], a[54:55], v[112:115]// 00000000582C: D3F30070 1DC26DB6
	v_mfma_f32_16x16x32_fp8_fp8 v[148:151], a[184:185], a[48:49], v[148:151]// 000000005834: D3F30094 1E5261B8
	v_mfma_f32_16x16x32_fp8_fp8 v[148:151], a[186:187], a[50:51], v[148:151]// 00000000583C: D3F30094 1E5265BA
	v_mfma_f32_16x16x32_fp8_fp8 v[148:151], a[188:189], a[52:53], v[148:151]// 000000005844: D3F30094 1E5269BC
	v_mfma_f32_16x16x32_fp8_fp8 v[148:151], a[190:191], a[54:55], v[148:151]// 00000000584C: D3F30094 1E526DBE
	v_mfma_f32_16x16x32_fp8_fp8 v[116:119], a[176:177], a[56:57], v[116:119]// 000000005854: D3F30074 1DD271B0
	v_mfma_f32_16x16x32_fp8_fp8 v[116:119], a[178:179], a[58:59], v[116:119]// 00000000585C: D3F30074 1DD275B2
	v_mfma_f32_16x16x32_fp8_fp8 v[116:119], a[180:181], a[60:61], v[116:119]// 000000005864: D3F30074 1DD279B4
	v_mfma_f32_16x16x32_fp8_fp8 v[116:119], a[182:183], a[62:63], v[116:119]// 00000000586C: D3F30074 1DD27DB6
	v_mfma_f32_16x16x32_fp8_fp8 v[152:155], a[184:185], a[56:57], v[152:155]// 000000005874: D3F30098 1E6271B8
	v_mfma_f32_16x16x32_fp8_fp8 v[152:155], a[186:187], a[58:59], v[152:155]// 00000000587C: D3F30098 1E6275BA
	v_mfma_f32_16x16x32_fp8_fp8 v[152:155], a[188:189], a[60:61], v[152:155]// 000000005884: D3F30098 1E6279BC
	v_mfma_f32_16x16x32_fp8_fp8 v[152:155], a[190:191], a[62:63], v[152:155]// 00000000588C: D3F30098 1E627DBE
	v_mfma_f32_16x16x32_fp8_fp8 v[120:123], a[176:177], a[64:65], v[120:123]// 000000005894: D3F30078 1DE281B0
	v_mfma_f32_16x16x32_fp8_fp8 v[120:123], a[178:179], a[66:67], v[120:123]// 00000000589C: D3F30078 1DE285B2
	v_mfma_f32_16x16x32_fp8_fp8 v[120:123], a[180:181], a[68:69], v[120:123]// 0000000058A4: D3F30078 1DE289B4
	v_mfma_f32_16x16x32_fp8_fp8 v[120:123], a[182:183], a[70:71], v[120:123]// 0000000058AC: D3F30078 1DE28DB6
	v_mfma_f32_16x16x32_fp8_fp8 v[156:159], a[184:185], a[64:65], v[156:159]// 0000000058B4: D3F3009C 1E7281B8
	v_mfma_f32_16x16x32_fp8_fp8 v[156:159], a[186:187], a[66:67], v[156:159]// 0000000058BC: D3F3009C 1E7285BA
	v_mfma_f32_16x16x32_fp8_fp8 v[156:159], a[188:189], a[68:69], v[156:159]// 0000000058C4: D3F3009C 1E7289BC
	v_mfma_f32_16x16x32_fp8_fp8 v[156:159], a[190:191], a[70:71], v[156:159]// 0000000058CC: D3F3009C 1E728DBE
	s_waitcnt vmcnt(22)                                        // 0000000058D4: BF8C4F76
	s_barrier                                                  // 0000000058D8: BF8A0000
	v_mfma_f32_16x16x32_fp8_fp8 v[160:163], a[144:145], a[0:1], v[160:163]// 0000000058DC: D3F300A0 1E820190
	v_mfma_f32_16x16x32_fp8_fp8 v[160:163], a[146:147], a[2:3], v[160:163]// 0000000058E4: D3F300A0 1E820592
	buffer_load_dwordx4 a[176:179], v84, s[84:87], 0 offen     // 0000000058EC: E05C1000 8095B054
	v_mfma_f32_16x16x32_fp8_fp8 v[160:163], a[148:149], a[4:5], v[160:163]// 0000000058F4: D3F300A0 1E820994
	v_mfma_f32_16x16x32_fp8_fp8 v[160:163], a[150:151], a[6:7], v[160:163]// 0000000058FC: D3F300A0 1E820D96
	ds_read_b128 a[72:75], v2 offset:37120                     // 000000005904: DBFE9100 48000002
	ds_read_b128 a[76:79], v2 offset:37184                     // 00000000590C: DBFE9140 4C000002
	v_mfma_f32_16x16x32_fp8_fp8 v[196:199], a[152:153], a[0:1], v[196:199]// 000000005914: D3F300C4 1F120198
	v_mfma_f32_16x16x32_fp8_fp8 v[196:199], a[154:155], a[2:3], v[196:199]// 00000000591C: D3F300C4 1F12059A
	buffer_load_dwordx4 a[180:183], v84, s[84:87], 0 offen offset:1024// 000000005924: E05C1400 8095B454
	v_mfma_f32_16x16x32_fp8_fp8 v[196:199], a[156:157], a[4:5], v[196:199]// 00000000592C: D3F300C4 1F12099C
	v_mfma_f32_16x16x32_fp8_fp8 v[196:199], a[158:159], a[6:7], v[196:199]// 000000005934: D3F300C4 1F120D9E
	ds_read_b128 a[80:83], v2 offset:37632                     // 00000000593C: DBFE9300 50000002
	ds_read_b128 a[84:87], v2 offset:37696                     // 000000005944: DBFE9340 54000002
	v_mfma_f32_16x16x32_fp8_fp8 v[164:167], a[144:145], a[8:9], v[164:167]// 00000000594C: D3F300A4 1E921190
	v_mfma_f32_16x16x32_fp8_fp8 v[164:167], a[146:147], a[10:11], v[164:167]// 000000005954: D3F300A4 1E921592
	buffer_load_dwordx4 a[184:187], v85, s[84:87], 0 offen     // 00000000595C: E05C1000 8095B855
	v_mfma_f32_16x16x32_fp8_fp8 v[164:167], a[148:149], a[12:13], v[164:167]// 000000005964: D3F300A4 1E921994
	v_mfma_f32_16x16x32_fp8_fp8 v[164:167], a[150:151], a[14:15], v[164:167]// 00000000596C: D3F300A4 1E921D96
	ds_read_b128 a[88:91], v2 offset:38144                     // 000000005974: DBFE9500 58000002
	ds_read_b128 a[92:95], v2 offset:38208                     // 00000000597C: DBFE9540 5C000002
	v_mfma_f32_16x16x32_fp8_fp8 v[200:203], a[152:153], a[8:9], v[200:203]// 000000005984: D3F300C8 1F221198
	v_mfma_f32_16x16x32_fp8_fp8 v[200:203], a[154:155], a[10:11], v[200:203]// 00000000598C: D3F300C8 1F22159A
	buffer_load_dwordx4 a[188:191], v85, s[84:87], 0 offen offset:1024// 000000005994: E05C1400 8095BC55
	v_mfma_f32_16x16x32_fp8_fp8 v[200:203], a[156:157], a[12:13], v[200:203]// 00000000599C: D3F300C8 1F22199C
	v_mfma_f32_16x16x32_fp8_fp8 v[200:203], a[158:159], a[14:15], v[200:203]// 0000000059A4: D3F300C8 1F221D9E
	ds_read_b128 a[96:99], v2 offset:38656                     // 0000000059AC: DBFE9700 60000002
	ds_read_b128 a[100:103], v2 offset:38720                   // 0000000059B4: DBFE9740 64000002
	v_mfma_f32_16x16x32_fp8_fp8 v[168:171], a[144:145], a[16:17], v[168:171]// 0000000059BC: D3F300A8 1EA22190
	v_mfma_f32_16x16x32_fp8_fp8 v[168:171], a[146:147], a[18:19], v[168:171]// 0000000059C4: D3F300A8 1EA22592
	v_mfma_f32_16x16x32_fp8_fp8 v[168:171], a[148:149], a[20:21], v[168:171]// 0000000059CC: D3F300A8 1EA22994
	v_mfma_f32_16x16x32_fp8_fp8 v[168:171], a[150:151], a[22:23], v[168:171]// 0000000059D4: D3F300A8 1EA22D96
	ds_read_b128 a[104:107], v2 offset:39168                   // 0000000059DC: DBFE9900 68000002
	ds_read_b128 a[108:111], v2 offset:39232                   // 0000000059E4: DBFE9940 6C000002
	v_mfma_f32_16x16x32_fp8_fp8 v[204:207], a[152:153], a[16:17], v[204:207]// 0000000059EC: D3F300CC 1F322198
	v_mfma_f32_16x16x32_fp8_fp8 v[204:207], a[154:155], a[18:19], v[204:207]// 0000000059F4: D3F300CC 1F32259A
	v_mfma_f32_16x16x32_fp8_fp8 v[204:207], a[156:157], a[20:21], v[204:207]// 0000000059FC: D3F300CC 1F32299C
	v_mfma_f32_16x16x32_fp8_fp8 v[204:207], a[158:159], a[22:23], v[204:207]// 000000005A04: D3F300CC 1F322D9E
	ds_read_b128 a[112:115], v2 offset:39680                   // 000000005A0C: DBFE9B00 70000002
	ds_read_b128 a[116:119], v2 offset:39744                   // 000000005A14: DBFE9B40 74000002
	v_mfma_f32_16x16x32_fp8_fp8 v[172:175], a[144:145], a[24:25], v[172:175]// 000000005A1C: D3F300AC 1EB23190
	v_mfma_f32_16x16x32_fp8_fp8 v[172:175], a[146:147], a[26:27], v[172:175]// 000000005A24: D3F300AC 1EB23592
	v_mfma_f32_16x16x32_fp8_fp8 v[172:175], a[148:149], a[28:29], v[172:175]// 000000005A2C: D3F300AC 1EB23994
	v_mfma_f32_16x16x32_fp8_fp8 v[172:175], a[150:151], a[30:31], v[172:175]// 000000005A34: D3F300AC 1EB23D96
	ds_read_b128 a[120:123], v2 offset:40192                   // 000000005A3C: DBFE9D00 78000002
	ds_read_b128 a[124:127], v2 offset:40256                   // 000000005A44: DBFE9D40 7C000002
	v_mfma_f32_16x16x32_fp8_fp8 v[208:211], a[152:153], a[24:25], v[208:211]// 000000005A4C: D3F300D0 1F423198
	v_mfma_f32_16x16x32_fp8_fp8 v[208:211], a[154:155], a[26:27], v[208:211]// 000000005A54: D3F300D0 1F42359A
	v_mfma_f32_16x16x32_fp8_fp8 v[208:211], a[156:157], a[28:29], v[208:211]// 000000005A5C: D3F300D0 1F42399C
	v_mfma_f32_16x16x32_fp8_fp8 v[208:211], a[158:159], a[30:31], v[208:211]// 000000005A64: D3F300D0 1F423D9E
	ds_read_b128 a[128:131], v2 offset:40704                   // 000000005A6C: DBFE9F00 80000002
	ds_read_b128 a[132:135], v2 offset:40768                   // 000000005A74: DBFE9F40 84000002
	v_mfma_f32_16x16x32_fp8_fp8 v[176:179], a[144:145], a[32:33], v[176:179]// 000000005A7C: D3F300B0 1EC24190
	v_mfma_f32_16x16x32_fp8_fp8 v[176:179], a[146:147], a[34:35], v[176:179]// 000000005A84: D3F300B0 1EC24592
	v_mfma_f32_16x16x32_fp8_fp8 v[176:179], a[148:149], a[36:37], v[176:179]// 000000005A8C: D3F300B0 1EC24994
	v_mfma_f32_16x16x32_fp8_fp8 v[176:179], a[150:151], a[38:39], v[176:179]// 000000005A94: D3F300B0 1EC24D96
	ds_read_b128 a[136:139], v2 offset:41216                   // 000000005A9C: DBFEA100 88000002
	ds_read_b128 a[140:143], v2 offset:41280                   // 000000005AA4: DBFEA140 8C000002
	v_mfma_f32_16x16x32_fp8_fp8 v[212:215], a[152:153], a[32:33], v[212:215]// 000000005AAC: D3F300D4 1F524198
	v_mfma_f32_16x16x32_fp8_fp8 v[212:215], a[154:155], a[34:35], v[212:215]// 000000005AB4: D3F300D4 1F52459A
	v_mfma_f32_16x16x32_fp8_fp8 v[212:215], a[156:157], a[36:37], v[212:215]// 000000005ABC: D3F300D4 1F52499C
	v_mfma_f32_16x16x32_fp8_fp8 v[212:215], a[158:159], a[38:39], v[212:215]// 000000005AC4: D3F300D4 1F524D9E
	v_mfma_f32_16x16x32_fp8_fp8 v[180:183], a[144:145], a[40:41], v[180:183]// 000000005ACC: D3F300B4 1ED25190
	v_mfma_f32_16x16x32_fp8_fp8 v[180:183], a[146:147], a[42:43], v[180:183]// 000000005AD4: D3F300B4 1ED25592
	v_mfma_f32_16x16x32_fp8_fp8 v[180:183], a[148:149], a[44:45], v[180:183]// 000000005ADC: D3F300B4 1ED25994
	v_mfma_f32_16x16x32_fp8_fp8 v[180:183], a[150:151], a[46:47], v[180:183]// 000000005AE4: D3F300B4 1ED25D96
	v_mfma_f32_16x16x32_fp8_fp8 v[216:219], a[152:153], a[40:41], v[216:219]// 000000005AEC: D3F300D8 1F625198
	v_mfma_f32_16x16x32_fp8_fp8 v[216:219], a[154:155], a[42:43], v[216:219]// 000000005AF4: D3F300D8 1F62559A
	v_mfma_f32_16x16x32_fp8_fp8 v[216:219], a[156:157], a[44:45], v[216:219]// 000000005AFC: D3F300D8 1F62599C
	v_mfma_f32_16x16x32_fp8_fp8 v[216:219], a[158:159], a[46:47], v[216:219]// 000000005B04: D3F300D8 1F625D9E
	v_mfma_f32_16x16x32_fp8_fp8 v[184:187], a[144:145], a[48:49], v[184:187]// 000000005B0C: D3F300B8 1EE26190
	v_mfma_f32_16x16x32_fp8_fp8 v[184:187], a[146:147], a[50:51], v[184:187]// 000000005B14: D3F300B8 1EE26592
	v_mfma_f32_16x16x32_fp8_fp8 v[184:187], a[148:149], a[52:53], v[184:187]// 000000005B1C: D3F300B8 1EE26994
	v_mfma_f32_16x16x32_fp8_fp8 v[184:187], a[150:151], a[54:55], v[184:187]// 000000005B24: D3F300B8 1EE26D96
	v_mfma_f32_16x16x32_fp8_fp8 v[220:223], a[152:153], a[48:49], v[220:223]// 000000005B2C: D3F300DC 1F726198
	v_mfma_f32_16x16x32_fp8_fp8 v[220:223], a[154:155], a[50:51], v[220:223]// 000000005B34: D3F300DC 1F72659A
	v_mfma_f32_16x16x32_fp8_fp8 v[220:223], a[156:157], a[52:53], v[220:223]// 000000005B3C: D3F300DC 1F72699C
	v_mfma_f32_16x16x32_fp8_fp8 v[220:223], a[158:159], a[54:55], v[220:223]// 000000005B44: D3F300DC 1F726D9E
	v_mfma_f32_16x16x32_fp8_fp8 v[188:191], a[144:145], a[56:57], v[188:191]// 000000005B4C: D3F300BC 1EF27190
	v_mfma_f32_16x16x32_fp8_fp8 v[188:191], a[146:147], a[58:59], v[188:191]// 000000005B54: D3F300BC 1EF27592
	v_mfma_f32_16x16x32_fp8_fp8 v[188:191], a[148:149], a[60:61], v[188:191]// 000000005B5C: D3F300BC 1EF27994
	v_mfma_f32_16x16x32_fp8_fp8 v[188:191], a[150:151], a[62:63], v[188:191]// 000000005B64: D3F300BC 1EF27D96
	v_mfma_f32_16x16x32_fp8_fp8 v[224:227], a[152:153], a[56:57], v[224:227]// 000000005B6C: D3F300E0 1F827198
	v_mfma_f32_16x16x32_fp8_fp8 v[224:227], a[154:155], a[58:59], v[224:227]// 000000005B74: D3F300E0 1F82759A
	v_mfma_f32_16x16x32_fp8_fp8 v[224:227], a[156:157], a[60:61], v[224:227]// 000000005B7C: D3F300E0 1F82799C
	v_mfma_f32_16x16x32_fp8_fp8 v[224:227], a[158:159], a[62:63], v[224:227]// 000000005B84: D3F300E0 1F827D9E
	v_mfma_f32_16x16x32_fp8_fp8 v[192:195], a[144:145], a[64:65], v[192:195]// 000000005B8C: D3F300C0 1F028190
	s_add_u32 s60, 0x180, s80                                  // 000000005B94: 803C50FF 00000180
	s_cmp_lt_u32 s60, s81                                      // 000000005B9C: BF0A513C
	s_cselect_b32 s57, s57, 0                                  // 000000005BA0: 85398039
	v_mfma_f32_16x16x32_fp8_fp8 v[192:195], a[146:147], a[66:67], v[192:195]// 000000005BA4: D3F300C0 1F028592
	s_add_u32 s60, 0x100, s80                                  // 000000005BAC: 803C50FF 00000100
	s_cmp_lt_u32 s60, s81                                      // 000000005BB4: BF0A513C
	s_cselect_b32 s58, s58, 0                                  // 000000005BB8: 853A803A
	v_mfma_f32_16x16x32_fp8_fp8 v[192:195], a[148:149], a[68:69], v[192:195]// 000000005BBC: D3F300C0 1F028994
	s_add_u32 s60, 0x100, s80                                  // 000000005BC4: 803C50FF 00000100
	s_cmp_lt_u32 s60, s81                                      // 000000005BCC: BF0A513C
	s_cselect_b32 s83, s83, 0                                  // 000000005BD0: 85538053
	v_mfma_f32_16x16x32_fp8_fp8 v[192:195], a[150:151], a[70:71], v[192:195]// 000000005BD4: D3F300C0 1F028D96
	s_add_u32 s24, s58, s24                                    // 000000005BDC: 8018183A
	s_addc_u32 s25, 0, s25                                     // 000000005BE0: 82191980
	v_mfma_f32_16x16x32_fp8_fp8 v[228:231], a[152:153], a[64:65], v[228:231]// 000000005BE4: D3F300E4 1F928198
	s_add_u32 s20, s57, s20                                    // 000000005BEC: 80141439
	s_addc_u32 s21, 0, s21                                     // 000000005BF0: 82151580
	v_mfma_f32_16x16x32_fp8_fp8 v[228:231], a[154:155], a[66:67], v[228:231]// 000000005BF4: D3F300E4 1F92859A
	s_add_u32 s84, s83, s84                                    // 000000005BFC: 80545453
	s_addc_u32 s85, 0, s85                                     // 000000005C00: 82555580
	v_mfma_f32_16x16x32_fp8_fp8 v[228:231], a[156:157], a[68:69], v[228:231]// 000000005C04: D3F300E4 1F92899C
	v_mfma_f32_16x16x32_fp8_fp8 v[228:231], a[158:159], a[70:71], v[228:231]// 000000005C0C: D3F300E4 1F928D9E
	s_addk_i32 s80, 0x80                                       // 000000005C14: B7500080
	s_cmp_lt_i32 s80, s81                                      // 000000005C18: BF045150
	s_cbranch_scc0 label_0E3C                                  // 000000005C1C: BF8401B4
	s_waitcnt vmcnt(22) lgkmcnt(0)                             // 000000005C20: BF8C4076
	v_mfma_f32_16x16x32_fp8_fp8 v[88:91], a[160:161], a[72:73], v[88:91]// 000000005C24: D3F30058 1D6291A0
	v_mfma_f32_16x16x32_fp8_fp8 v[88:91], a[162:163], a[74:75], v[88:91]// 000000005C2C: D3F30058 1D6295A2
	buffer_load_dwordx4 a[144:147], v84, s[24:27], 0 offen     // 000000005C34: E05C1000 80869054
	v_mfma_f32_16x16x32_fp8_fp8 v[88:91], a[164:165], a[76:77], v[88:91]// 000000005C3C: D3F30058 1D6299A4
	v_mfma_f32_16x16x32_fp8_fp8 v[88:91], a[166:167], a[78:79], v[88:91]// 000000005C44: D3F30058 1D629DA6
	v_mfma_f32_16x16x32_fp8_fp8 v[124:127], a[168:169], a[72:73], v[124:127]// 000000005C4C: D3F3007C 1DF291A8
	v_mfma_f32_16x16x32_fp8_fp8 v[124:127], a[170:171], a[74:75], v[124:127]// 000000005C54: D3F3007C 1DF295AA
	buffer_load_dwordx4 a[148:151], v84, s[24:27], 0 offen offset:1024// 000000005C5C: E05C1400 80869454
	v_mfma_f32_16x16x32_fp8_fp8 v[124:127], a[172:173], a[76:77], v[124:127]// 000000005C64: D3F3007C 1DF299AC
	v_mfma_f32_16x16x32_fp8_fp8 v[124:127], a[174:175], a[78:79], v[124:127]// 000000005C6C: D3F3007C 1DF29DAE
	v_mfma_f32_16x16x32_fp8_fp8 v[92:95], a[160:161], a[80:81], v[92:95]// 000000005C74: D3F3005C 1D72A1A0
	v_mfma_f32_16x16x32_fp8_fp8 v[92:95], a[162:163], a[82:83], v[92:95]// 000000005C7C: D3F3005C 1D72A5A2
	buffer_load_dwordx4 a[152:155], v85, s[24:27], 0 offen     // 000000005C84: E05C1000 80869855
	v_mfma_f32_16x16x32_fp8_fp8 v[92:95], a[164:165], a[84:85], v[92:95]// 000000005C8C: D3F3005C 1D72A9A4
	v_mfma_f32_16x16x32_fp8_fp8 v[92:95], a[166:167], a[86:87], v[92:95]// 000000005C94: D3F3005C 1D72ADA6
	v_mfma_f32_16x16x32_fp8_fp8 v[128:131], a[168:169], a[80:81], v[128:131]// 000000005C9C: D3F30080 1E02A1A8
	v_mfma_f32_16x16x32_fp8_fp8 v[128:131], a[170:171], a[82:83], v[128:131]// 000000005CA4: D3F30080 1E02A5AA
	buffer_load_dwordx4 a[156:159], v85, s[24:27], 0 offen offset:1024// 000000005CAC: E05C1400 80869C55
	buffer_load_dword v66, s[20:23], 0 offen lds               // 000000005CB4: E0511000 80050042
	s_add_u32 m0, 0x100, s49                                   // 000000005CBC: 807C31FF 00000100
	v_mfma_f32_16x16x32_fp8_fp8 v[128:131], a[172:173], a[84:85], v[128:131]// 000000005CC4: D3F30080 1E02A9AC
	v_mfma_f32_16x16x32_fp8_fp8 v[128:131], a[174:175], a[86:87], v[128:131]// 000000005CCC: D3F30080 1E02ADAE
	buffer_load_dword v67, s[20:23], 0 offen lds               // 000000005CD4: E0511000 80050043
	s_add_u32 m0, 0x200, s49                                   // 000000005CDC: 807C31FF 00000200
	v_mfma_f32_16x16x32_fp8_fp8 v[96:99], a[160:161], a[88:89], v[96:99]// 000000005CE4: D3F30060 1D82B1A0
	v_mfma_f32_16x16x32_fp8_fp8 v[96:99], a[162:163], a[90:91], v[96:99]// 000000005CEC: D3F30060 1D82B5A2
	buffer_load_dword v68, s[20:23], 0 offen lds               // 000000005CF4: E0511000 80050044
	s_add_u32 m0, 0x300, s49                                   // 000000005CFC: 807C31FF 00000300
	v_mfma_f32_16x16x32_fp8_fp8 v[96:99], a[164:165], a[92:93], v[96:99]// 000000005D04: D3F30060 1D82B9A4
	v_mfma_f32_16x16x32_fp8_fp8 v[96:99], a[166:167], a[94:95], v[96:99]// 000000005D0C: D3F30060 1D82BDA6
	buffer_load_dword v69, s[20:23], 0 offen lds               // 000000005D14: E0511000 80050045
	s_add_u32 m0, 0x400, s49                                   // 000000005D1C: 807C31FF 00000400
	v_mfma_f32_16x16x32_fp8_fp8 v[132:135], a[168:169], a[88:89], v[132:135]// 000000005D24: D3F30084 1E12B1A8
	v_mfma_f32_16x16x32_fp8_fp8 v[132:135], a[170:171], a[90:91], v[132:135]// 000000005D2C: D3F30084 1E12B5AA
	buffer_load_dword v70, s[20:23], 0 offen lds               // 000000005D34: E0511000 80050046
	s_add_u32 m0, 0x500, s49                                   // 000000005D3C: 807C31FF 00000500
	v_mfma_f32_16x16x32_fp8_fp8 v[132:135], a[172:173], a[92:93], v[132:135]// 000000005D44: D3F30084 1E12B9AC
	v_mfma_f32_16x16x32_fp8_fp8 v[132:135], a[174:175], a[94:95], v[132:135]// 000000005D4C: D3F30084 1E12BDAE
	buffer_load_dword v71, s[20:23], 0 offen lds               // 000000005D54: E0511000 80050047
	s_add_u32 m0, 0x600, s49                                   // 000000005D5C: 807C31FF 00000600
	v_mfma_f32_16x16x32_fp8_fp8 v[100:103], a[160:161], a[96:97], v[100:103]// 000000005D64: D3F30064 1D92C1A0
	v_mfma_f32_16x16x32_fp8_fp8 v[100:103], a[162:163], a[98:99], v[100:103]// 000000005D6C: D3F30064 1D92C5A2
	buffer_load_dword v72, s[20:23], 0 offen lds               // 000000005D74: E0511000 80050048
	s_add_u32 m0, 0x700, s49                                   // 000000005D7C: 807C31FF 00000700
	v_mfma_f32_16x16x32_fp8_fp8 v[100:103], a[164:165], a[100:101], v[100:103]// 000000005D84: D3F30064 1D92C9A4
	v_mfma_f32_16x16x32_fp8_fp8 v[100:103], a[166:167], a[102:103], v[100:103]// 000000005D8C: D3F30064 1D92CDA6
	buffer_load_dword v73, s[20:23], 0 offen lds               // 000000005D94: E0511000 80050049
	s_add_u32 m0, 0x800, s49                                   // 000000005D9C: 807C31FF 00000800
	v_mfma_f32_16x16x32_fp8_fp8 v[136:139], a[168:169], a[96:97], v[136:139]// 000000005DA4: D3F30088 1E22C1A8
	v_mfma_f32_16x16x32_fp8_fp8 v[136:139], a[170:171], a[98:99], v[136:139]// 000000005DAC: D3F30088 1E22C5AA
	buffer_load_dword v74, s[20:23], 0 offen lds               // 000000005DB4: E0511000 8005004A
	s_add_u32 m0, 0x900, s49                                   // 000000005DBC: 807C31FF 00000900
	v_mfma_f32_16x16x32_fp8_fp8 v[136:139], a[172:173], a[100:101], v[136:139]// 000000005DC4: D3F30088 1E22C9AC
	v_mfma_f32_16x16x32_fp8_fp8 v[136:139], a[174:175], a[102:103], v[136:139]// 000000005DCC: D3F30088 1E22CDAE
	buffer_load_dword v75, s[20:23], 0 offen lds               // 000000005DD4: E0511000 8005004B
	s_add_u32 m0, 0xa00, s49                                   // 000000005DDC: 807C31FF 00000A00
	v_mfma_f32_16x16x32_fp8_fp8 v[104:107], a[160:161], a[104:105], v[104:107]// 000000005DE4: D3F30068 1DA2D1A0
	v_mfma_f32_16x16x32_fp8_fp8 v[104:107], a[162:163], a[106:107], v[104:107]// 000000005DEC: D3F30068 1DA2D5A2
	buffer_load_dword v76, s[20:23], 0 offen lds               // 000000005DF4: E0511000 8005004C
	s_add_u32 m0, 0xb00, s49                                   // 000000005DFC: 807C31FF 00000B00
	v_mfma_f32_16x16x32_fp8_fp8 v[104:107], a[164:165], a[108:109], v[104:107]// 000000005E04: D3F30068 1DA2D9A4
	v_mfma_f32_16x16x32_fp8_fp8 v[104:107], a[166:167], a[110:111], v[104:107]// 000000005E0C: D3F30068 1DA2DDA6
	buffer_load_dword v77, s[20:23], 0 offen lds               // 000000005E14: E0511000 8005004D
	s_add_u32 m0, 0xc00, s49                                   // 000000005E1C: 807C31FF 00000C00
	v_mfma_f32_16x16x32_fp8_fp8 v[140:143], a[168:169], a[104:105], v[140:143]// 000000005E24: D3F3008C 1E32D1A8
	v_mfma_f32_16x16x32_fp8_fp8 v[140:143], a[170:171], a[106:107], v[140:143]// 000000005E2C: D3F3008C 1E32D5AA
	buffer_load_dword v78, s[20:23], 0 offen lds               // 000000005E34: E0511000 8005004E
	s_add_u32 m0, 0xd00, s49                                   // 000000005E3C: 807C31FF 00000D00
	v_mfma_f32_16x16x32_fp8_fp8 v[140:143], a[172:173], a[108:109], v[140:143]// 000000005E44: D3F3008C 1E32D9AC
	v_mfma_f32_16x16x32_fp8_fp8 v[140:143], a[174:175], a[110:111], v[140:143]// 000000005E4C: D3F3008C 1E32DDAE
	buffer_load_dword v79, s[20:23], 0 offen lds               // 000000005E54: E0511000 8005004F
	s_add_u32 m0, 0xe00, s49                                   // 000000005E5C: 807C31FF 00000E00
	v_mfma_f32_16x16x32_fp8_fp8 v[108:111], a[160:161], a[112:113], v[108:111]// 000000005E64: D3F3006C 1DB2E1A0
	v_mfma_f32_16x16x32_fp8_fp8 v[108:111], a[162:163], a[114:115], v[108:111]// 000000005E6C: D3F3006C 1DB2E5A2
	buffer_load_dword v80, s[20:23], 0 offen lds               // 000000005E74: E0511000 80050050
	s_add_u32 m0, 0xf00, s49                                   // 000000005E7C: 807C31FF 00000F00
	v_mfma_f32_16x16x32_fp8_fp8 v[108:111], a[164:165], a[116:117], v[108:111]// 000000005E84: D3F3006C 1DB2E9A4
	v_mfma_f32_16x16x32_fp8_fp8 v[108:111], a[166:167], a[118:119], v[108:111]// 000000005E8C: D3F3006C 1DB2EDA6
	buffer_load_dword v81, s[20:23], 0 offen lds               // 000000005E94: E0511000 80050051
	s_add_u32 m0, 0x1000, s49                                  // 000000005E9C: 807C31FF 00001000
	v_mfma_f32_16x16x32_fp8_fp8 v[144:147], a[168:169], a[112:113], v[144:147]// 000000005EA4: D3F30090 1E42E1A8
	v_mfma_f32_16x16x32_fp8_fp8 v[144:147], a[170:171], a[114:115], v[144:147]// 000000005EAC: D3F30090 1E42E5AA
	buffer_load_dword v82, s[20:23], 0 offen lds               // 000000005EB4: E0511000 80050052
	s_add_u32 m0, 0x1100, s49                                  // 000000005EBC: 807C31FF 00001100
	v_mfma_f32_16x16x32_fp8_fp8 v[144:147], a[172:173], a[116:117], v[144:147]// 000000005EC4: D3F30090 1E42E9AC
	v_mfma_f32_16x16x32_fp8_fp8 v[144:147], a[174:175], a[118:119], v[144:147]// 000000005ECC: D3F30090 1E42EDAE
	buffer_load_dword v83, s[20:23], 0 offen lds               // 000000005ED4: E0511000 80050053
	s_add_u32 m0, 0, s50                                       // 000000005EDC: 807C3280
	v_mfma_f32_16x16x32_fp8_fp8 v[112:115], a[160:161], a[120:121], v[112:115]// 000000005EE0: D3F30070 1DC2F1A0
	v_mfma_f32_16x16x32_fp8_fp8 v[112:115], a[162:163], a[122:123], v[112:115]// 000000005EE8: D3F30070 1DC2F5A2
	v_mfma_f32_16x16x32_fp8_fp8 v[112:115], a[164:165], a[124:125], v[112:115]// 000000005EF0: D3F30070 1DC2F9A4
	v_mfma_f32_16x16x32_fp8_fp8 v[112:115], a[166:167], a[126:127], v[112:115]// 000000005EF8: D3F30070 1DC2FDA6
	v_mfma_f32_16x16x32_fp8_fp8 v[148:151], a[168:169], a[120:121], v[148:151]// 000000005F00: D3F30094 1E52F1A8
	v_mfma_f32_16x16x32_fp8_fp8 v[148:151], a[170:171], a[122:123], v[148:151]// 000000005F08: D3F30094 1E52F5AA
	v_mfma_f32_16x16x32_fp8_fp8 v[148:151], a[172:173], a[124:125], v[148:151]// 000000005F10: D3F30094 1E52F9AC
	v_mfma_f32_16x16x32_fp8_fp8 v[148:151], a[174:175], a[126:127], v[148:151]// 000000005F18: D3F30094 1E52FDAE
	v_mfma_f32_16x16x32_fp8_fp8 v[116:119], a[160:161], a[128:129], v[116:119]// 000000005F20: D3F30074 1DD301A0
	v_mfma_f32_16x16x32_fp8_fp8 v[116:119], a[162:163], a[130:131], v[116:119]// 000000005F28: D3F30074 1DD305A2
	v_mfma_f32_16x16x32_fp8_fp8 v[116:119], a[164:165], a[132:133], v[116:119]// 000000005F30: D3F30074 1DD309A4
	v_mfma_f32_16x16x32_fp8_fp8 v[116:119], a[166:167], a[134:135], v[116:119]// 000000005F38: D3F30074 1DD30DA6
	v_mfma_f32_16x16x32_fp8_fp8 v[152:155], a[168:169], a[128:129], v[152:155]// 000000005F40: D3F30098 1E6301A8
	v_mfma_f32_16x16x32_fp8_fp8 v[152:155], a[170:171], a[130:131], v[152:155]// 000000005F48: D3F30098 1E6305AA
	v_mfma_f32_16x16x32_fp8_fp8 v[152:155], a[172:173], a[132:133], v[152:155]// 000000005F50: D3F30098 1E6309AC
	v_mfma_f32_16x16x32_fp8_fp8 v[152:155], a[174:175], a[134:135], v[152:155]// 000000005F58: D3F30098 1E630DAE
	v_mfma_f32_16x16x32_fp8_fp8 v[120:123], a[160:161], a[136:137], v[120:123]// 000000005F60: D3F30078 1DE311A0
	v_mfma_f32_16x16x32_fp8_fp8 v[120:123], a[162:163], a[138:139], v[120:123]// 000000005F68: D3F30078 1DE315A2
	v_mfma_f32_16x16x32_fp8_fp8 v[120:123], a[164:165], a[140:141], v[120:123]// 000000005F70: D3F30078 1DE319A4
	v_mfma_f32_16x16x32_fp8_fp8 v[120:123], a[166:167], a[142:143], v[120:123]// 000000005F78: D3F30078 1DE31DA6
	v_mfma_f32_16x16x32_fp8_fp8 v[156:159], a[168:169], a[136:137], v[156:159]// 000000005F80: D3F3009C 1E7311A8
	v_mfma_f32_16x16x32_fp8_fp8 v[156:159], a[170:171], a[138:139], v[156:159]// 000000005F88: D3F3009C 1E7315AA
	v_mfma_f32_16x16x32_fp8_fp8 v[156:159], a[172:173], a[140:141], v[156:159]// 000000005F90: D3F3009C 1E7319AC
	v_mfma_f32_16x16x32_fp8_fp8 v[156:159], a[174:175], a[142:143], v[156:159]// 000000005F98: D3F3009C 1E731DAE
	s_waitcnt vmcnt(22)                                        // 000000005FA0: BF8C4F76
	s_barrier                                                  // 000000005FA4: BF8A0000
	v_mfma_f32_16x16x32_fp8_fp8 v[160:163], a[176:177], a[72:73], v[160:163]// 000000005FA8: D3F300A0 1E8291B0
	v_mfma_f32_16x16x32_fp8_fp8 v[160:163], a[178:179], a[74:75], v[160:163]// 000000005FB0: D3F300A0 1E8295B2
	buffer_load_dwordx4 a[160:163], v84, s[84:87], 0 offen     // 000000005FB8: E05C1000 8095A054
	v_mfma_f32_16x16x32_fp8_fp8 v[160:163], a[180:181], a[76:77], v[160:163]// 000000005FC0: D3F300A0 1E8299B4
	v_mfma_f32_16x16x32_fp8_fp8 v[160:163], a[182:183], a[78:79], v[160:163]// 000000005FC8: D3F300A0 1E829DB6
	ds_read_b128 a[0:3], v2                                    // 000000005FD0: DBFE0000 00000002
	ds_read_b128 a[4:7], v2 offset:64                          // 000000005FD8: DBFE0040 04000002
	v_mfma_f32_16x16x32_fp8_fp8 v[196:199], a[184:185], a[72:73], v[196:199]// 000000005FE0: D3F300C4 1F1291B8
	v_mfma_f32_16x16x32_fp8_fp8 v[196:199], a[186:187], a[74:75], v[196:199]// 000000005FE8: D3F300C4 1F1295BA
	buffer_load_dwordx4 a[164:167], v84, s[84:87], 0 offen offset:1024// 000000005FF0: E05C1400 8095A454
	v_mfma_f32_16x16x32_fp8_fp8 v[196:199], a[188:189], a[76:77], v[196:199]// 000000005FF8: D3F300C4 1F1299BC
	v_mfma_f32_16x16x32_fp8_fp8 v[196:199], a[190:191], a[78:79], v[196:199]// 000000006000: D3F300C4 1F129DBE
	ds_read_b128 a[8:11], v2 offset:512                        // 000000006008: DBFE0200 08000002
	ds_read_b128 a[12:15], v2 offset:576                       // 000000006010: DBFE0240 0C000002
	v_mfma_f32_16x16x32_fp8_fp8 v[164:167], a[176:177], a[80:81], v[164:167]// 000000006018: D3F300A4 1E92A1B0
	v_mfma_f32_16x16x32_fp8_fp8 v[164:167], a[178:179], a[82:83], v[164:167]// 000000006020: D3F300A4 1E92A5B2
	buffer_load_dwordx4 a[168:171], v85, s[84:87], 0 offen     // 000000006028: E05C1000 8095A855
	v_mfma_f32_16x16x32_fp8_fp8 v[164:167], a[180:181], a[84:85], v[164:167]// 000000006030: D3F300A4 1E92A9B4
	v_mfma_f32_16x16x32_fp8_fp8 v[164:167], a[182:183], a[86:87], v[164:167]// 000000006038: D3F300A4 1E92ADB6
	ds_read_b128 a[16:19], v2 offset:1024                      // 000000006040: DBFE0400 10000002
	ds_read_b128 a[20:23], v2 offset:1088                      // 000000006048: DBFE0440 14000002
	v_mfma_f32_16x16x32_fp8_fp8 v[200:203], a[184:185], a[80:81], v[200:203]// 000000006050: D3F300C8 1F22A1B8
	v_mfma_f32_16x16x32_fp8_fp8 v[200:203], a[186:187], a[82:83], v[200:203]// 000000006058: D3F300C8 1F22A5BA
	buffer_load_dwordx4 a[172:175], v85, s[84:87], 0 offen offset:1024// 000000006060: E05C1400 8095AC55
	v_mfma_f32_16x16x32_fp8_fp8 v[200:203], a[188:189], a[84:85], v[200:203]// 000000006068: D3F300C8 1F22A9BC
	v_mfma_f32_16x16x32_fp8_fp8 v[200:203], a[190:191], a[86:87], v[200:203]// 000000006070: D3F300C8 1F22ADBE
	ds_read_b128 a[24:27], v2 offset:1536                      // 000000006078: DBFE0600 18000002
	ds_read_b128 a[28:31], v2 offset:1600                      // 000000006080: DBFE0640 1C000002
	v_mfma_f32_16x16x32_fp8_fp8 v[168:171], a[176:177], a[88:89], v[168:171]// 000000006088: D3F300A8 1EA2B1B0
	v_mfma_f32_16x16x32_fp8_fp8 v[168:171], a[178:179], a[90:91], v[168:171]// 000000006090: D3F300A8 1EA2B5B2
	v_mfma_f32_16x16x32_fp8_fp8 v[168:171], a[180:181], a[92:93], v[168:171]// 000000006098: D3F300A8 1EA2B9B4
	v_mfma_f32_16x16x32_fp8_fp8 v[168:171], a[182:183], a[94:95], v[168:171]// 0000000060A0: D3F300A8 1EA2BDB6
	ds_read_b128 a[32:35], v2 offset:2048                      // 0000000060A8: DBFE0800 20000002
	ds_read_b128 a[36:39], v2 offset:2112                      // 0000000060B0: DBFE0840 24000002
	v_mfma_f32_16x16x32_fp8_fp8 v[204:207], a[184:185], a[88:89], v[204:207]// 0000000060B8: D3F300CC 1F32B1B8
	v_mfma_f32_16x16x32_fp8_fp8 v[204:207], a[186:187], a[90:91], v[204:207]// 0000000060C0: D3F300CC 1F32B5BA
	v_mfma_f32_16x16x32_fp8_fp8 v[204:207], a[188:189], a[92:93], v[204:207]// 0000000060C8: D3F300CC 1F32B9BC
	v_mfma_f32_16x16x32_fp8_fp8 v[204:207], a[190:191], a[94:95], v[204:207]// 0000000060D0: D3F300CC 1F32BDBE
	ds_read_b128 a[40:43], v2 offset:2560                      // 0000000060D8: DBFE0A00 28000002
	ds_read_b128 a[44:47], v2 offset:2624                      // 0000000060E0: DBFE0A40 2C000002
	v_mfma_f32_16x16x32_fp8_fp8 v[172:175], a[176:177], a[96:97], v[172:175]// 0000000060E8: D3F300AC 1EB2C1B0
	v_mfma_f32_16x16x32_fp8_fp8 v[172:175], a[178:179], a[98:99], v[172:175]// 0000000060F0: D3F300AC 1EB2C5B2
	v_mfma_f32_16x16x32_fp8_fp8 v[172:175], a[180:181], a[100:101], v[172:175]// 0000000060F8: D3F300AC 1EB2C9B4
	v_mfma_f32_16x16x32_fp8_fp8 v[172:175], a[182:183], a[102:103], v[172:175]// 000000006100: D3F300AC 1EB2CDB6
	ds_read_b128 a[48:51], v2 offset:3072                      // 000000006108: DBFE0C00 30000002
	ds_read_b128 a[52:55], v2 offset:3136                      // 000000006110: DBFE0C40 34000002
	v_mfma_f32_16x16x32_fp8_fp8 v[208:211], a[184:185], a[96:97], v[208:211]// 000000006118: D3F300D0 1F42C1B8
	v_mfma_f32_16x16x32_fp8_fp8 v[208:211], a[186:187], a[98:99], v[208:211]// 000000006120: D3F300D0 1F42C5BA
	v_mfma_f32_16x16x32_fp8_fp8 v[208:211], a[188:189], a[100:101], v[208:211]// 000000006128: D3F300D0 1F42C9BC
	v_mfma_f32_16x16x32_fp8_fp8 v[208:211], a[190:191], a[102:103], v[208:211]// 000000006130: D3F300D0 1F42CDBE
	ds_read_b128 a[56:59], v2 offset:3584                      // 000000006138: DBFE0E00 38000002
	ds_read_b128 a[60:63], v2 offset:3648                      // 000000006140: DBFE0E40 3C000002
	v_mfma_f32_16x16x32_fp8_fp8 v[176:179], a[176:177], a[104:105], v[176:179]// 000000006148: D3F300B0 1EC2D1B0
	v_mfma_f32_16x16x32_fp8_fp8 v[176:179], a[178:179], a[106:107], v[176:179]// 000000006150: D3F300B0 1EC2D5B2
	v_mfma_f32_16x16x32_fp8_fp8 v[176:179], a[180:181], a[108:109], v[176:179]// 000000006158: D3F300B0 1EC2D9B4
	v_mfma_f32_16x16x32_fp8_fp8 v[176:179], a[182:183], a[110:111], v[176:179]// 000000006160: D3F300B0 1EC2DDB6
	ds_read_b128 a[64:67], v2 offset:4096                      // 000000006168: DBFE1000 40000002
	ds_read_b128 a[68:71], v2 offset:4160                      // 000000006170: DBFE1040 44000002
	v_mfma_f32_16x16x32_fp8_fp8 v[212:215], a[184:185], a[104:105], v[212:215]// 000000006178: D3F300D4 1F52D1B8
	v_mfma_f32_16x16x32_fp8_fp8 v[212:215], a[186:187], a[106:107], v[212:215]// 000000006180: D3F300D4 1F52D5BA
	v_mfma_f32_16x16x32_fp8_fp8 v[212:215], a[188:189], a[108:109], v[212:215]// 000000006188: D3F300D4 1F52D9BC
	v_mfma_f32_16x16x32_fp8_fp8 v[212:215], a[190:191], a[110:111], v[212:215]// 000000006190: D3F300D4 1F52DDBE
	v_mfma_f32_16x16x32_fp8_fp8 v[180:183], a[176:177], a[112:113], v[180:183]// 000000006198: D3F300B4 1ED2E1B0
	v_mfma_f32_16x16x32_fp8_fp8 v[180:183], a[178:179], a[114:115], v[180:183]// 0000000061A0: D3F300B4 1ED2E5B2
	v_mfma_f32_16x16x32_fp8_fp8 v[180:183], a[180:181], a[116:117], v[180:183]// 0000000061A8: D3F300B4 1ED2E9B4
	v_mfma_f32_16x16x32_fp8_fp8 v[180:183], a[182:183], a[118:119], v[180:183]// 0000000061B0: D3F300B4 1ED2EDB6
	v_mfma_f32_16x16x32_fp8_fp8 v[216:219], a[184:185], a[112:113], v[216:219]// 0000000061B8: D3F300D8 1F62E1B8
	v_mfma_f32_16x16x32_fp8_fp8 v[216:219], a[186:187], a[114:115], v[216:219]// 0000000061C0: D3F300D8 1F62E5BA
	v_mfma_f32_16x16x32_fp8_fp8 v[216:219], a[188:189], a[116:117], v[216:219]// 0000000061C8: D3F300D8 1F62E9BC
	v_mfma_f32_16x16x32_fp8_fp8 v[216:219], a[190:191], a[118:119], v[216:219]// 0000000061D0: D3F300D8 1F62EDBE
	v_mfma_f32_16x16x32_fp8_fp8 v[184:187], a[176:177], a[120:121], v[184:187]// 0000000061D8: D3F300B8 1EE2F1B0
	v_mfma_f32_16x16x32_fp8_fp8 v[184:187], a[178:179], a[122:123], v[184:187]// 0000000061E0: D3F300B8 1EE2F5B2
	v_mfma_f32_16x16x32_fp8_fp8 v[184:187], a[180:181], a[124:125], v[184:187]// 0000000061E8: D3F300B8 1EE2F9B4
	v_mfma_f32_16x16x32_fp8_fp8 v[184:187], a[182:183], a[126:127], v[184:187]// 0000000061F0: D3F300B8 1EE2FDB6
	v_mfma_f32_16x16x32_fp8_fp8 v[220:223], a[184:185], a[120:121], v[220:223]// 0000000061F8: D3F300DC 1F72F1B8
	v_mfma_f32_16x16x32_fp8_fp8 v[220:223], a[186:187], a[122:123], v[220:223]// 000000006200: D3F300DC 1F72F5BA
	v_mfma_f32_16x16x32_fp8_fp8 v[220:223], a[188:189], a[124:125], v[220:223]// 000000006208: D3F300DC 1F72F9BC
	v_mfma_f32_16x16x32_fp8_fp8 v[220:223], a[190:191], a[126:127], v[220:223]// 000000006210: D3F300DC 1F72FDBE
	v_mfma_f32_16x16x32_fp8_fp8 v[188:191], a[176:177], a[128:129], v[188:191]// 000000006218: D3F300BC 1EF301B0
	v_mfma_f32_16x16x32_fp8_fp8 v[188:191], a[178:179], a[130:131], v[188:191]// 000000006220: D3F300BC 1EF305B2
	v_mfma_f32_16x16x32_fp8_fp8 v[188:191], a[180:181], a[132:133], v[188:191]// 000000006228: D3F300BC 1EF309B4
	v_mfma_f32_16x16x32_fp8_fp8 v[188:191], a[182:183], a[134:135], v[188:191]// 000000006230: D3F300BC 1EF30DB6
	v_mfma_f32_16x16x32_fp8_fp8 v[224:227], a[184:185], a[128:129], v[224:227]// 000000006238: D3F300E0 1F8301B8
	v_mfma_f32_16x16x32_fp8_fp8 v[224:227], a[186:187], a[130:131], v[224:227]// 000000006240: D3F300E0 1F8305BA
	v_mfma_f32_16x16x32_fp8_fp8 v[224:227], a[188:189], a[132:133], v[224:227]// 000000006248: D3F300E0 1F8309BC
	v_mfma_f32_16x16x32_fp8_fp8 v[224:227], a[190:191], a[134:135], v[224:227]// 000000006250: D3F300E0 1F830DBE
	v_mfma_f32_16x16x32_fp8_fp8 v[192:195], a[176:177], a[136:137], v[192:195]// 000000006258: D3F300C0 1F0311B0
	s_add_u32 s60, 0x180, s80                                  // 000000006260: 803C50FF 00000180
	s_cmp_lt_u32 s60, s81                                      // 000000006268: BF0A513C
	s_cselect_b32 s57, s57, 0                                  // 00000000626C: 85398039
	v_mfma_f32_16x16x32_fp8_fp8 v[192:195], a[178:179], a[138:139], v[192:195]// 000000006270: D3F300C0 1F0315B2
	s_add_u32 s60, 0x100, s80                                  // 000000006278: 803C50FF 00000100
	s_cmp_lt_u32 s60, s81                                      // 000000006280: BF0A513C
	s_cselect_b32 s58, s58, 0                                  // 000000006284: 853A803A
	v_mfma_f32_16x16x32_fp8_fp8 v[192:195], a[180:181], a[140:141], v[192:195]// 000000006288: D3F300C0 1F0319B4
	s_add_u32 s60, 0x100, s80                                  // 000000006290: 803C50FF 00000100
	s_cmp_lt_u32 s60, s81                                      // 000000006298: BF0A513C
	s_cselect_b32 s83, s83, 0                                  // 00000000629C: 85538053
	v_mfma_f32_16x16x32_fp8_fp8 v[192:195], a[182:183], a[142:143], v[192:195]// 0000000062A0: D3F300C0 1F031DB6
	s_add_u32 s24, s58, s24                                    // 0000000062A8: 8018183A
	s_addc_u32 s25, 0, s25                                     // 0000000062AC: 82191980
	v_mfma_f32_16x16x32_fp8_fp8 v[228:231], a[184:185], a[136:137], v[228:231]// 0000000062B0: D3F300E4 1F9311B8
	s_add_u32 s20, s57, s20                                    // 0000000062B8: 80141439
	s_addc_u32 s21, 0, s21                                     // 0000000062BC: 82151580
	v_mfma_f32_16x16x32_fp8_fp8 v[228:231], a[186:187], a[138:139], v[228:231]// 0000000062C0: D3F300E4 1F9315BA
	s_add_u32 s84, s83, s84                                    // 0000000062C8: 80545453
	s_addc_u32 s85, 0, s85                                     // 0000000062CC: 82555580
	v_mfma_f32_16x16x32_fp8_fp8 v[228:231], a[188:189], a[140:141], v[228:231]// 0000000062D0: D3F300E4 1F9319BC
	v_mfma_f32_16x16x32_fp8_fp8 v[228:231], a[190:191], a[142:143], v[228:231]// 0000000062D8: D3F300E4 1F931DBE
	s_addk_i32 s80, 0x80                                       // 0000000062E0: B7500080
	s_cmp_lt_i32 s80, s81                                      // 0000000062E4: BF045150
	s_cbranch_scc0 label_0E3C                                  // 0000000062E8: BF840001
	s_branch label_0409                                        // 0000000062EC: BF82F5CD

00000000000062f0 <label_0E3C>:
	v_mul_f32_dpp v88, v24, v88 row_newbcast:0 row_mask:0xf bank_mask:0xf// 0000000062F0: 0AB0B0FA FF015018
	v_mul_f32_dpp v89, v24, v89 row_newbcast:1 row_mask:0xf bank_mask:0xf// 0000000062F8: 0AB2B2FA FF015118
	v_mul_f32_dpp v90, v24, v90 row_newbcast:2 row_mask:0xf bank_mask:0xf// 000000006300: 0AB4B4FA FF015218
	v_mul_f32_dpp v91, v24, v91 row_newbcast:3 row_mask:0xf bank_mask:0xf// 000000006308: 0AB6B6FA FF015318
	v_mul_f32_dpp v92, v24, v92 row_newbcast:0 row_mask:0xf bank_mask:0xf// 000000006310: 0AB8B8FA FF015018
	v_mul_f32_dpp v93, v24, v93 row_newbcast:1 row_mask:0xf bank_mask:0xf// 000000006318: 0ABABAFA FF015118
	v_mul_f32_dpp v94, v24, v94 row_newbcast:2 row_mask:0xf bank_mask:0xf// 000000006320: 0ABCBCFA FF015218
	v_mul_f32_dpp v95, v24, v95 row_newbcast:3 row_mask:0xf bank_mask:0xf// 000000006328: 0ABEBEFA FF015318
	v_mul_f32_dpp v96, v24, v96 row_newbcast:0 row_mask:0xf bank_mask:0xf// 000000006330: 0AC0C0FA FF015018
	v_mul_f32_dpp v97, v24, v97 row_newbcast:1 row_mask:0xf bank_mask:0xf// 000000006338: 0AC2C2FA FF015118
	v_mul_f32_dpp v98, v24, v98 row_newbcast:2 row_mask:0xf bank_mask:0xf// 000000006340: 0AC4C4FA FF015218
	v_mul_f32_dpp v99, v24, v99 row_newbcast:3 row_mask:0xf bank_mask:0xf// 000000006348: 0AC6C6FA FF015318
	v_mul_f32_dpp v100, v24, v100 row_newbcast:0 row_mask:0xf bank_mask:0xf// 000000006350: 0AC8C8FA FF015018
	v_mul_f32_dpp v101, v24, v101 row_newbcast:1 row_mask:0xf bank_mask:0xf// 000000006358: 0ACACAFA FF015118
	v_mul_f32_dpp v102, v24, v102 row_newbcast:2 row_mask:0xf bank_mask:0xf// 000000006360: 0ACCCCFA FF015218
	v_mul_f32_dpp v103, v24, v103 row_newbcast:3 row_mask:0xf bank_mask:0xf// 000000006368: 0ACECEFA FF015318
	v_mul_f32_dpp v104, v24, v104 row_newbcast:0 row_mask:0xf bank_mask:0xf// 000000006370: 0AD0D0FA FF015018
	v_mul_f32_dpp v105, v24, v105 row_newbcast:1 row_mask:0xf bank_mask:0xf// 000000006378: 0AD2D2FA FF015118
	v_mul_f32_dpp v106, v24, v106 row_newbcast:2 row_mask:0xf bank_mask:0xf// 000000006380: 0AD4D4FA FF015218
	v_mul_f32_dpp v107, v24, v107 row_newbcast:3 row_mask:0xf bank_mask:0xf// 000000006388: 0AD6D6FA FF015318
	v_mul_f32_dpp v108, v24, v108 row_newbcast:0 row_mask:0xf bank_mask:0xf// 000000006390: 0AD8D8FA FF015018
	v_mul_f32_dpp v109, v24, v109 row_newbcast:1 row_mask:0xf bank_mask:0xf// 000000006398: 0ADADAFA FF015118
	v_mul_f32_dpp v110, v24, v110 row_newbcast:2 row_mask:0xf bank_mask:0xf// 0000000063A0: 0ADCDCFA FF015218
	v_mul_f32_dpp v111, v24, v111 row_newbcast:3 row_mask:0xf bank_mask:0xf// 0000000063A8: 0ADEDEFA FF015318
	v_mul_f32_dpp v112, v24, v112 row_newbcast:0 row_mask:0xf bank_mask:0xf// 0000000063B0: 0AE0E0FA FF015018
	v_mul_f32_dpp v113, v24, v113 row_newbcast:1 row_mask:0xf bank_mask:0xf// 0000000063B8: 0AE2E2FA FF015118
	v_mul_f32_dpp v114, v24, v114 row_newbcast:2 row_mask:0xf bank_mask:0xf// 0000000063C0: 0AE4E4FA FF015218
	v_mul_f32_dpp v115, v24, v115 row_newbcast:3 row_mask:0xf bank_mask:0xf// 0000000063C8: 0AE6E6FA FF015318
	v_mul_f32_dpp v116, v24, v116 row_newbcast:0 row_mask:0xf bank_mask:0xf// 0000000063D0: 0AE8E8FA FF015018
	v_mul_f32_dpp v117, v24, v117 row_newbcast:1 row_mask:0xf bank_mask:0xf// 0000000063D8: 0AEAEAFA FF015118
	v_mul_f32_dpp v118, v24, v118 row_newbcast:2 row_mask:0xf bank_mask:0xf// 0000000063E0: 0AECECFA FF015218
	v_mul_f32_dpp v119, v24, v119 row_newbcast:3 row_mask:0xf bank_mask:0xf// 0000000063E8: 0AEEEEFA FF015318
	v_mul_f32_dpp v120, v24, v120 row_newbcast:0 row_mask:0xf bank_mask:0xf// 0000000063F0: 0AF0F0FA FF015018
	v_mul_f32_dpp v121, v24, v121 row_newbcast:1 row_mask:0xf bank_mask:0xf// 0000000063F8: 0AF2F2FA FF015118
	v_mul_f32_dpp v122, v24, v122 row_newbcast:2 row_mask:0xf bank_mask:0xf// 000000006400: 0AF4F4FA FF015218
	v_mul_f32_dpp v123, v24, v123 row_newbcast:3 row_mask:0xf bank_mask:0xf// 000000006408: 0AF6F6FA FF015318
	v_mul_f32_dpp v124, v24, v124 row_newbcast:4 row_mask:0xf bank_mask:0xf// 000000006410: 0AF8F8FA FF015418
	v_mul_f32_dpp v125, v24, v125 row_newbcast:5 row_mask:0xf bank_mask:0xf// 000000006418: 0AFAFAFA FF015518
	v_mul_f32_dpp v126, v24, v126 row_newbcast:6 row_mask:0xf bank_mask:0xf// 000000006420: 0AFCFCFA FF015618
	v_mul_f32_dpp v127, v24, v127 row_newbcast:7 row_mask:0xf bank_mask:0xf// 000000006428: 0AFEFEFA FF015718
	v_mul_f32_dpp v128, v24, v128 row_newbcast:4 row_mask:0xf bank_mask:0xf// 000000006430: 0B0100FA FF015418
	v_mul_f32_dpp v129, v24, v129 row_newbcast:5 row_mask:0xf bank_mask:0xf// 000000006438: 0B0302FA FF015518
	v_mul_f32_dpp v130, v24, v130 row_newbcast:6 row_mask:0xf bank_mask:0xf// 000000006440: 0B0504FA FF015618
	v_mul_f32_dpp v131, v24, v131 row_newbcast:7 row_mask:0xf bank_mask:0xf// 000000006448: 0B0706FA FF015718
	v_mul_f32_dpp v132, v24, v132 row_newbcast:4 row_mask:0xf bank_mask:0xf// 000000006450: 0B0908FA FF015418
	v_mul_f32_dpp v133, v24, v133 row_newbcast:5 row_mask:0xf bank_mask:0xf// 000000006458: 0B0B0AFA FF015518
	v_mul_f32_dpp v134, v24, v134 row_newbcast:6 row_mask:0xf bank_mask:0xf// 000000006460: 0B0D0CFA FF015618
	v_mul_f32_dpp v135, v24, v135 row_newbcast:7 row_mask:0xf bank_mask:0xf// 000000006468: 0B0F0EFA FF015718
	v_mul_f32_dpp v136, v24, v136 row_newbcast:4 row_mask:0xf bank_mask:0xf// 000000006470: 0B1110FA FF015418
	v_mul_f32_dpp v137, v24, v137 row_newbcast:5 row_mask:0xf bank_mask:0xf// 000000006478: 0B1312FA FF015518
	v_mul_f32_dpp v138, v24, v138 row_newbcast:6 row_mask:0xf bank_mask:0xf// 000000006480: 0B1514FA FF015618
	v_mul_f32_dpp v139, v24, v139 row_newbcast:7 row_mask:0xf bank_mask:0xf// 000000006488: 0B1716FA FF015718
	v_mul_f32_dpp v140, v24, v140 row_newbcast:4 row_mask:0xf bank_mask:0xf// 000000006490: 0B1918FA FF015418
	v_mul_f32_dpp v141, v24, v141 row_newbcast:5 row_mask:0xf bank_mask:0xf// 000000006498: 0B1B1AFA FF015518
	v_mul_f32_dpp v142, v24, v142 row_newbcast:6 row_mask:0xf bank_mask:0xf// 0000000064A0: 0B1D1CFA FF015618
	v_mul_f32_dpp v143, v24, v143 row_newbcast:7 row_mask:0xf bank_mask:0xf// 0000000064A8: 0B1F1EFA FF015718
	v_mul_f32_dpp v144, v24, v144 row_newbcast:4 row_mask:0xf bank_mask:0xf// 0000000064B0: 0B2120FA FF015418
	v_mul_f32_dpp v145, v24, v145 row_newbcast:5 row_mask:0xf bank_mask:0xf// 0000000064B8: 0B2322FA FF015518
	v_mul_f32_dpp v146, v24, v146 row_newbcast:6 row_mask:0xf bank_mask:0xf// 0000000064C0: 0B2524FA FF015618
	v_mul_f32_dpp v147, v24, v147 row_newbcast:7 row_mask:0xf bank_mask:0xf// 0000000064C8: 0B2726FA FF015718
	v_mul_f32_dpp v148, v24, v148 row_newbcast:4 row_mask:0xf bank_mask:0xf// 0000000064D0: 0B2928FA FF015418
	v_mul_f32_dpp v149, v24, v149 row_newbcast:5 row_mask:0xf bank_mask:0xf// 0000000064D8: 0B2B2AFA FF015518
	v_mul_f32_dpp v150, v24, v150 row_newbcast:6 row_mask:0xf bank_mask:0xf// 0000000064E0: 0B2D2CFA FF015618
	v_mul_f32_dpp v151, v24, v151 row_newbcast:7 row_mask:0xf bank_mask:0xf// 0000000064E8: 0B2F2EFA FF015718
	v_mul_f32_dpp v152, v24, v152 row_newbcast:4 row_mask:0xf bank_mask:0xf// 0000000064F0: 0B3130FA FF015418
	v_mul_f32_dpp v153, v24, v153 row_newbcast:5 row_mask:0xf bank_mask:0xf// 0000000064F8: 0B3332FA FF015518
	v_mul_f32_dpp v154, v24, v154 row_newbcast:6 row_mask:0xf bank_mask:0xf// 000000006500: 0B3534FA FF015618
	v_mul_f32_dpp v155, v24, v155 row_newbcast:7 row_mask:0xf bank_mask:0xf// 000000006508: 0B3736FA FF015718
	v_mul_f32_dpp v156, v24, v156 row_newbcast:4 row_mask:0xf bank_mask:0xf// 000000006510: 0B3938FA FF015418
	v_mul_f32_dpp v157, v24, v157 row_newbcast:5 row_mask:0xf bank_mask:0xf// 000000006518: 0B3B3AFA FF015518
	v_mul_f32_dpp v158, v24, v158 row_newbcast:6 row_mask:0xf bank_mask:0xf// 000000006520: 0B3D3CFA FF015618
	v_mul_f32_dpp v159, v24, v159 row_newbcast:7 row_mask:0xf bank_mask:0xf// 000000006528: 0B3F3EFA FF015718
	v_mul_f32_dpp v160, v27, v160 row_newbcast:0 row_mask:0xf bank_mask:0xf// 000000006530: 0B4140FA FF01501B
	v_mul_f32_dpp v161, v27, v161 row_newbcast:1 row_mask:0xf bank_mask:0xf// 000000006538: 0B4342FA FF01511B
	v_mul_f32_dpp v162, v27, v162 row_newbcast:2 row_mask:0xf bank_mask:0xf// 000000006540: 0B4544FA FF01521B
	v_mul_f32_dpp v163, v27, v163 row_newbcast:3 row_mask:0xf bank_mask:0xf// 000000006548: 0B4746FA FF01531B
	v_mul_f32_dpp v164, v27, v164 row_newbcast:0 row_mask:0xf bank_mask:0xf// 000000006550: 0B4948FA FF01501B
	v_mul_f32_dpp v165, v27, v165 row_newbcast:1 row_mask:0xf bank_mask:0xf// 000000006558: 0B4B4AFA FF01511B
	v_mul_f32_dpp v166, v27, v166 row_newbcast:2 row_mask:0xf bank_mask:0xf// 000000006560: 0B4D4CFA FF01521B
	v_mul_f32_dpp v167, v27, v167 row_newbcast:3 row_mask:0xf bank_mask:0xf// 000000006568: 0B4F4EFA FF01531B
	v_mul_f32_dpp v168, v27, v168 row_newbcast:0 row_mask:0xf bank_mask:0xf// 000000006570: 0B5150FA FF01501B
	v_mul_f32_dpp v169, v27, v169 row_newbcast:1 row_mask:0xf bank_mask:0xf// 000000006578: 0B5352FA FF01511B
	v_mul_f32_dpp v170, v27, v170 row_newbcast:2 row_mask:0xf bank_mask:0xf// 000000006580: 0B5554FA FF01521B
	v_mul_f32_dpp v171, v27, v171 row_newbcast:3 row_mask:0xf bank_mask:0xf// 000000006588: 0B5756FA FF01531B
	v_mul_f32_dpp v172, v27, v172 row_newbcast:0 row_mask:0xf bank_mask:0xf// 000000006590: 0B5958FA FF01501B
	v_mul_f32_dpp v173, v27, v173 row_newbcast:1 row_mask:0xf bank_mask:0xf// 000000006598: 0B5B5AFA FF01511B
	v_mul_f32_dpp v174, v27, v174 row_newbcast:2 row_mask:0xf bank_mask:0xf// 0000000065A0: 0B5D5CFA FF01521B
	v_mul_f32_dpp v175, v27, v175 row_newbcast:3 row_mask:0xf bank_mask:0xf// 0000000065A8: 0B5F5EFA FF01531B
	v_mul_f32_dpp v176, v27, v176 row_newbcast:0 row_mask:0xf bank_mask:0xf// 0000000065B0: 0B6160FA FF01501B
	v_mul_f32_dpp v177, v27, v177 row_newbcast:1 row_mask:0xf bank_mask:0xf// 0000000065B8: 0B6362FA FF01511B
	v_mul_f32_dpp v178, v27, v178 row_newbcast:2 row_mask:0xf bank_mask:0xf// 0000000065C0: 0B6564FA FF01521B
	v_mul_f32_dpp v179, v27, v179 row_newbcast:3 row_mask:0xf bank_mask:0xf// 0000000065C8: 0B6766FA FF01531B
	v_mul_f32_dpp v180, v27, v180 row_newbcast:0 row_mask:0xf bank_mask:0xf// 0000000065D0: 0B6968FA FF01501B
	v_mul_f32_dpp v181, v27, v181 row_newbcast:1 row_mask:0xf bank_mask:0xf// 0000000065D8: 0B6B6AFA FF01511B
	v_mul_f32_dpp v182, v27, v182 row_newbcast:2 row_mask:0xf bank_mask:0xf// 0000000065E0: 0B6D6CFA FF01521B
	v_mul_f32_dpp v183, v27, v183 row_newbcast:3 row_mask:0xf bank_mask:0xf// 0000000065E8: 0B6F6EFA FF01531B
	v_mul_f32_dpp v184, v27, v184 row_newbcast:0 row_mask:0xf bank_mask:0xf// 0000000065F0: 0B7170FA FF01501B
	v_mul_f32_dpp v185, v27, v185 row_newbcast:1 row_mask:0xf bank_mask:0xf// 0000000065F8: 0B7372FA FF01511B
	v_mul_f32_dpp v186, v27, v186 row_newbcast:2 row_mask:0xf bank_mask:0xf// 000000006600: 0B7574FA FF01521B
	v_mul_f32_dpp v187, v27, v187 row_newbcast:3 row_mask:0xf bank_mask:0xf// 000000006608: 0B7776FA FF01531B
	v_mul_f32_dpp v188, v27, v188 row_newbcast:0 row_mask:0xf bank_mask:0xf// 000000006610: 0B7978FA FF01501B
	v_mul_f32_dpp v189, v27, v189 row_newbcast:1 row_mask:0xf bank_mask:0xf// 000000006618: 0B7B7AFA FF01511B
	v_mul_f32_dpp v190, v27, v190 row_newbcast:2 row_mask:0xf bank_mask:0xf// 000000006620: 0B7D7CFA FF01521B
	v_mul_f32_dpp v191, v27, v191 row_newbcast:3 row_mask:0xf bank_mask:0xf// 000000006628: 0B7F7EFA FF01531B
	v_mul_f32_dpp v192, v27, v192 row_newbcast:0 row_mask:0xf bank_mask:0xf// 000000006630: 0B8180FA FF01501B
	v_mul_f32_dpp v193, v27, v193 row_newbcast:1 row_mask:0xf bank_mask:0xf// 000000006638: 0B8382FA FF01511B
	v_mul_f32_dpp v194, v27, v194 row_newbcast:2 row_mask:0xf bank_mask:0xf// 000000006640: 0B8584FA FF01521B
	v_mul_f32_dpp v195, v27, v195 row_newbcast:3 row_mask:0xf bank_mask:0xf// 000000006648: 0B8786FA FF01531B
	v_mul_f32_dpp v196, v27, v196 row_newbcast:4 row_mask:0xf bank_mask:0xf// 000000006650: 0B8988FA FF01541B
	v_mul_f32_dpp v197, v27, v197 row_newbcast:5 row_mask:0xf bank_mask:0xf// 000000006658: 0B8B8AFA FF01551B
	v_mul_f32_dpp v198, v27, v198 row_newbcast:6 row_mask:0xf bank_mask:0xf// 000000006660: 0B8D8CFA FF01561B
	v_mul_f32_dpp v199, v27, v199 row_newbcast:7 row_mask:0xf bank_mask:0xf// 000000006668: 0B8F8EFA FF01571B
	v_mul_f32_dpp v200, v27, v200 row_newbcast:4 row_mask:0xf bank_mask:0xf// 000000006670: 0B9190FA FF01541B
	v_mul_f32_dpp v201, v27, v201 row_newbcast:5 row_mask:0xf bank_mask:0xf// 000000006678: 0B9392FA FF01551B
	v_mul_f32_dpp v202, v27, v202 row_newbcast:6 row_mask:0xf bank_mask:0xf// 000000006680: 0B9594FA FF01561B
	v_mul_f32_dpp v203, v27, v203 row_newbcast:7 row_mask:0xf bank_mask:0xf// 000000006688: 0B9796FA FF01571B
	v_mul_f32_dpp v204, v27, v204 row_newbcast:4 row_mask:0xf bank_mask:0xf// 000000006690: 0B9998FA FF01541B
	v_mul_f32_dpp v205, v27, v205 row_newbcast:5 row_mask:0xf bank_mask:0xf// 000000006698: 0B9B9AFA FF01551B
	v_mul_f32_dpp v206, v27, v206 row_newbcast:6 row_mask:0xf bank_mask:0xf// 0000000066A0: 0B9D9CFA FF01561B
	v_mul_f32_dpp v207, v27, v207 row_newbcast:7 row_mask:0xf bank_mask:0xf// 0000000066A8: 0B9F9EFA FF01571B
	v_mul_f32_dpp v208, v27, v208 row_newbcast:4 row_mask:0xf bank_mask:0xf// 0000000066B0: 0BA1A0FA FF01541B
	v_mul_f32_dpp v209, v27, v209 row_newbcast:5 row_mask:0xf bank_mask:0xf// 0000000066B8: 0BA3A2FA FF01551B
	v_mul_f32_dpp v210, v27, v210 row_newbcast:6 row_mask:0xf bank_mask:0xf// 0000000066C0: 0BA5A4FA FF01561B
	v_mul_f32_dpp v211, v27, v211 row_newbcast:7 row_mask:0xf bank_mask:0xf// 0000000066C8: 0BA7A6FA FF01571B
	v_mul_f32_dpp v212, v27, v212 row_newbcast:4 row_mask:0xf bank_mask:0xf// 0000000066D0: 0BA9A8FA FF01541B
	v_mul_f32_dpp v213, v27, v213 row_newbcast:5 row_mask:0xf bank_mask:0xf// 0000000066D8: 0BABAAFA FF01551B
	v_mul_f32_dpp v214, v27, v214 row_newbcast:6 row_mask:0xf bank_mask:0xf// 0000000066E0: 0BADACFA FF01561B
	v_mul_f32_dpp v215, v27, v215 row_newbcast:7 row_mask:0xf bank_mask:0xf// 0000000066E8: 0BAFAEFA FF01571B
	v_mul_f32_dpp v216, v27, v216 row_newbcast:4 row_mask:0xf bank_mask:0xf// 0000000066F0: 0BB1B0FA FF01541B
	v_mul_f32_dpp v217, v27, v217 row_newbcast:5 row_mask:0xf bank_mask:0xf// 0000000066F8: 0BB3B2FA FF01551B
	v_mul_f32_dpp v218, v27, v218 row_newbcast:6 row_mask:0xf bank_mask:0xf// 000000006700: 0BB5B4FA FF01561B
	v_mul_f32_dpp v219, v27, v219 row_newbcast:7 row_mask:0xf bank_mask:0xf// 000000006708: 0BB7B6FA FF01571B
	v_mul_f32_dpp v220, v27, v220 row_newbcast:4 row_mask:0xf bank_mask:0xf// 000000006710: 0BB9B8FA FF01541B
	v_mul_f32_dpp v221, v27, v221 row_newbcast:5 row_mask:0xf bank_mask:0xf// 000000006718: 0BBBBAFA FF01551B
	v_mul_f32_dpp v222, v27, v222 row_newbcast:6 row_mask:0xf bank_mask:0xf// 000000006720: 0BBDBCFA FF01561B
	v_mul_f32_dpp v223, v27, v223 row_newbcast:7 row_mask:0xf bank_mask:0xf// 000000006728: 0BBFBEFA FF01571B
	v_mul_f32_dpp v224, v27, v224 row_newbcast:4 row_mask:0xf bank_mask:0xf// 000000006730: 0BC1C0FA FF01541B
	v_mul_f32_dpp v225, v27, v225 row_newbcast:5 row_mask:0xf bank_mask:0xf// 000000006738: 0BC3C2FA FF01551B
	v_mul_f32_dpp v226, v27, v226 row_newbcast:6 row_mask:0xf bank_mask:0xf// 000000006740: 0BC5C4FA FF01561B
	v_mul_f32_dpp v227, v27, v227 row_newbcast:7 row_mask:0xf bank_mask:0xf// 000000006748: 0BC7C6FA FF01571B
	v_mul_f32_dpp v228, v27, v228 row_newbcast:4 row_mask:0xf bank_mask:0xf// 000000006750: 0BC9C8FA FF01541B
	v_mul_f32_dpp v229, v27, v229 row_newbcast:5 row_mask:0xf bank_mask:0xf// 000000006758: 0BCBCAFA FF01551B
	v_mul_f32_dpp v230, v27, v230 row_newbcast:6 row_mask:0xf bank_mask:0xf// 000000006760: 0BCDCCFA FF01561B
	v_mul_f32_dpp v231, v27, v231 row_newbcast:7 row_mask:0xf bank_mask:0xf// 000000006768: 0BCFCEFA FF01571B
	v_mul_f32_e32 v39, v39, v232                               // 000000006770: 0A4FD127
	v_mov_b32_e32 v4, v39                                      // 000000006774: 7E080327
	v_mov_b32_e32 v5, v4                                       // 000000006778: 7E0A0304
	v_pk_mul_f32 v[88:89], v[4:5], v[88:89]                    // 00000000677C: D3B14058 1802B104
	v_pk_mul_f32 v[160:161], v[4:5], v[160:161]                // 000000006784: D3B140A0 18034104
	v_pk_mul_f32 v[90:91], v[4:5], v[90:91]                    // 00000000678C: D3B1405A 1802B504
	v_pk_mul_f32 v[162:163], v[4:5], v[162:163]                // 000000006794: D3B140A2 18034504
	v_pk_mul_f32 v[124:125], v[4:5], v[124:125]                // 00000000679C: D3B1407C 1802F904
	v_pk_mul_f32 v[196:197], v[4:5], v[196:197]                // 0000000067A4: D3B140C4 18038904
	v_pk_mul_f32 v[126:127], v[4:5], v[126:127]                // 0000000067AC: D3B1407E 1802FD04
	v_pk_mul_f32 v[198:199], v[4:5], v[198:199]                // 0000000067B4: D3B140C6 18038D04
	v_mul_f32_e32 v40, v40, v233                               // 0000000067BC: 0A51D328
	v_mov_b32_e32 v4, v40                                      // 0000000067C0: 7E080328
	v_mov_b32_e32 v5, v4                                       // 0000000067C4: 7E0A0304
	v_pk_mul_f32 v[92:93], v[4:5], v[92:93]                    // 0000000067C8: D3B1405C 1802B904
	v_pk_mul_f32 v[164:165], v[4:5], v[164:165]                // 0000000067D0: D3B140A4 18034904
	v_pk_mul_f32 v[94:95], v[4:5], v[94:95]                    // 0000000067D8: D3B1405E 1802BD04
	v_pk_mul_f32 v[166:167], v[4:5], v[166:167]                // 0000000067E0: D3B140A6 18034D04
	v_pk_mul_f32 v[128:129], v[4:5], v[128:129]                // 0000000067E8: D3B14080 18030104
	v_pk_mul_f32 v[200:201], v[4:5], v[200:201]                // 0000000067F0: D3B140C8 18039104
	v_pk_mul_f32 v[130:131], v[4:5], v[130:131]                // 0000000067F8: D3B14082 18030504
	v_pk_mul_f32 v[202:203], v[4:5], v[202:203]                // 000000006800: D3B140CA 18039504
	v_mul_f32_e32 v41, v41, v234                               // 000000006808: 0A53D529
	v_mov_b32_e32 v4, v41                                      // 00000000680C: 7E080329
	v_mov_b32_e32 v5, v4                                       // 000000006810: 7E0A0304
	v_pk_mul_f32 v[96:97], v[4:5], v[96:97]                    // 000000006814: D3B14060 1802C104
	v_pk_mul_f32 v[168:169], v[4:5], v[168:169]                // 00000000681C: D3B140A8 18035104
	v_pk_mul_f32 v[98:99], v[4:5], v[98:99]                    // 000000006824: D3B14062 1802C504
	v_pk_mul_f32 v[170:171], v[4:5], v[170:171]                // 00000000682C: D3B140AA 18035504
	v_pk_mul_f32 v[132:133], v[4:5], v[132:133]                // 000000006834: D3B14084 18030904
	v_pk_mul_f32 v[204:205], v[4:5], v[204:205]                // 00000000683C: D3B140CC 18039904
	v_pk_mul_f32 v[134:135], v[4:5], v[134:135]                // 000000006844: D3B14086 18030D04
	v_pk_mul_f32 v[206:207], v[4:5], v[206:207]                // 00000000684C: D3B140CE 18039D04
	v_mul_f32_e32 v42, v42, v235                               // 000000006854: 0A55D72A
	v_mov_b32_e32 v4, v42                                      // 000000006858: 7E08032A
	v_mov_b32_e32 v5, v4                                       // 00000000685C: 7E0A0304
	v_pk_mul_f32 v[100:101], v[4:5], v[100:101]                // 000000006860: D3B14064 1802C904
	v_pk_mul_f32 v[172:173], v[4:5], v[172:173]                // 000000006868: D3B140AC 18035904
	v_pk_mul_f32 v[102:103], v[4:5], v[102:103]                // 000000006870: D3B14066 1802CD04
	v_pk_mul_f32 v[174:175], v[4:5], v[174:175]                // 000000006878: D3B140AE 18035D04
	v_pk_mul_f32 v[136:137], v[4:5], v[136:137]                // 000000006880: D3B14088 18031104
	v_pk_mul_f32 v[208:209], v[4:5], v[208:209]                // 000000006888: D3B140D0 1803A104
	v_pk_mul_f32 v[138:139], v[4:5], v[138:139]                // 000000006890: D3B1408A 18031504
	v_pk_mul_f32 v[210:211], v[4:5], v[210:211]                // 000000006898: D3B140D2 1803A504
	v_mul_f32_e32 v43, v43, v236                               // 0000000068A0: 0A57D92B
	v_mov_b32_e32 v4, v43                                      // 0000000068A4: 7E08032B
	v_mov_b32_e32 v5, v4                                       // 0000000068A8: 7E0A0304
	v_pk_mul_f32 v[104:105], v[4:5], v[104:105]                // 0000000068AC: D3B14068 1802D104
	v_pk_mul_f32 v[176:177], v[4:5], v[176:177]                // 0000000068B4: D3B140B0 18036104
	v_pk_mul_f32 v[106:107], v[4:5], v[106:107]                // 0000000068BC: D3B1406A 1802D504
	v_pk_mul_f32 v[178:179], v[4:5], v[178:179]                // 0000000068C4: D3B140B2 18036504
	v_pk_mul_f32 v[140:141], v[4:5], v[140:141]                // 0000000068CC: D3B1408C 18031904
	v_pk_mul_f32 v[212:213], v[4:5], v[212:213]                // 0000000068D4: D3B140D4 1803A904
	v_pk_mul_f32 v[142:143], v[4:5], v[142:143]                // 0000000068DC: D3B1408E 18031D04
	v_pk_mul_f32 v[214:215], v[4:5], v[214:215]                // 0000000068E4: D3B140D6 1803AD04
	v_mul_f32_e32 v44, v44, v237                               // 0000000068EC: 0A59DB2C
	v_mov_b32_e32 v4, v44                                      // 0000000068F0: 7E08032C
	v_mov_b32_e32 v5, v4                                       // 0000000068F4: 7E0A0304
	v_pk_mul_f32 v[108:109], v[4:5], v[108:109]                // 0000000068F8: D3B1406C 1802D904
	v_pk_mul_f32 v[180:181], v[4:5], v[180:181]                // 000000006900: D3B140B4 18036904
	v_pk_mul_f32 v[110:111], v[4:5], v[110:111]                // 000000006908: D3B1406E 1802DD04
	v_pk_mul_f32 v[182:183], v[4:5], v[182:183]                // 000000006910: D3B140B6 18036D04
	v_pk_mul_f32 v[144:145], v[4:5], v[144:145]                // 000000006918: D3B14090 18032104
	v_pk_mul_f32 v[216:217], v[4:5], v[216:217]                // 000000006920: D3B140D8 1803B104
	v_pk_mul_f32 v[146:147], v[4:5], v[146:147]                // 000000006928: D3B14092 18032504
	v_pk_mul_f32 v[218:219], v[4:5], v[218:219]                // 000000006930: D3B140DA 1803B504
	v_mul_f32_e32 v45, v45, v238                               // 000000006938: 0A5BDD2D
	v_mov_b32_e32 v4, v45                                      // 00000000693C: 7E08032D
	v_mov_b32_e32 v5, v4                                       // 000000006940: 7E0A0304
	v_pk_mul_f32 v[112:113], v[4:5], v[112:113]                // 000000006944: D3B14070 1802E104
	v_pk_mul_f32 v[184:185], v[4:5], v[184:185]                // 00000000694C: D3B140B8 18037104
	v_pk_mul_f32 v[114:115], v[4:5], v[114:115]                // 000000006954: D3B14072 1802E504
	v_pk_mul_f32 v[186:187], v[4:5], v[186:187]                // 00000000695C: D3B140BA 18037504
	v_pk_mul_f32 v[148:149], v[4:5], v[148:149]                // 000000006964: D3B14094 18032904
	v_pk_mul_f32 v[220:221], v[4:5], v[220:221]                // 00000000696C: D3B140DC 1803B904
	v_pk_mul_f32 v[150:151], v[4:5], v[150:151]                // 000000006974: D3B14096 18032D04
	v_pk_mul_f32 v[222:223], v[4:5], v[222:223]                // 00000000697C: D3B140DE 1803BD04
	v_mul_f32_e32 v46, v46, v239                               // 000000006984: 0A5DDF2E
	v_mov_b32_e32 v4, v46                                      // 000000006988: 7E08032E
	v_mov_b32_e32 v5, v4                                       // 00000000698C: 7E0A0304
	v_pk_mul_f32 v[116:117], v[4:5], v[116:117]                // 000000006990: D3B14074 1802E904
	v_pk_mul_f32 v[188:189], v[4:5], v[188:189]                // 000000006998: D3B140BC 18037904
	v_pk_mul_f32 v[118:119], v[4:5], v[118:119]                // 0000000069A0: D3B14076 1802ED04
	v_pk_mul_f32 v[190:191], v[4:5], v[190:191]                // 0000000069A8: D3B140BE 18037D04
	v_pk_mul_f32 v[152:153], v[4:5], v[152:153]                // 0000000069B0: D3B14098 18033104
	v_pk_mul_f32 v[224:225], v[4:5], v[224:225]                // 0000000069B8: D3B140E0 1803C104
	v_pk_mul_f32 v[154:155], v[4:5], v[154:155]                // 0000000069C0: D3B1409A 18033504
	v_pk_mul_f32 v[226:227], v[4:5], v[226:227]                // 0000000069C8: D3B140E2 1803C504
	v_mul_f32_e32 v47, v47, v240                               // 0000000069D0: 0A5FE12F
	v_mov_b32_e32 v4, v47                                      // 0000000069D4: 7E08032F
	v_mov_b32_e32 v5, v4                                       // 0000000069D8: 7E0A0304
	v_pk_mul_f32 v[120:121], v[4:5], v[120:121]                // 0000000069DC: D3B14078 1802F104
	v_pk_mul_f32 v[192:193], v[4:5], v[192:193]                // 0000000069E4: D3B140C0 18038104
	v_pk_mul_f32 v[122:123], v[4:5], v[122:123]                // 0000000069EC: D3B1407A 1802F504
	v_pk_mul_f32 v[194:195], v[4:5], v[194:195]                // 0000000069F4: D3B140C2 18038504
	v_pk_mul_f32 v[156:157], v[4:5], v[156:157]                // 0000000069FC: D3B1409C 18033904
	v_pk_mul_f32 v[228:229], v[4:5], v[228:229]                // 000000006A04: D3B140E4 1803C904
	v_pk_mul_f32 v[158:159], v[4:5], v[158:159]                // 000000006A0C: D3B1409E 18033D04
	v_pk_mul_f32 v[230:231], v[4:5], v[230:231]                // 000000006A14: D3B140E6 1803CD04
	s_cmp_eq_u32 s88, 0                                        // 000000006A1C: BF068058
	s_cbranch_scc0 label_1A92                                  // 000000006A20: BF840A89
	s_cmp_eq_u32 s89, 0                                        // 000000006A24: BF068059
	s_cbranch_scc1 label_12E0                                  // 000000006A28: BF8502D5
	v_mov_b32_e32 v8, v1                                       // 000000006A2C: 7E100301
	v_mov_b32_e32 v9, v1                                       // 000000006A30: 7E120301
	s_mov_b32 s60, s6                                          // 000000006A34: BEBC0006
	s_mov_b32 s61, s6                                          // 000000006A38: BEBD0006
	v_pk_mul_f32 v[4:5], v[88:89], v[88:89]                    // 000000006A3C: D3B14004 1802B158
	v_pk_mul_f32 v[6:7], v[90:91], v[90:91]                    // 000000006A44: D3B14006 1802B55A
	v_pk_fma_f32 v[4:5], v[4:5], s[78:79], v[8:9]              // 000000006A4C: D3B04004 1C209D04
	v_pk_fma_f32 v[6:7], v[6:7], s[78:79], v[8:9]              // 000000006A54: D3B04006 1C209D06
	v_pk_mul_f32 v[4:5], v[4:5], v[88:89]                      // 000000006A5C: D3B14004 1802B104
	v_pk_mul_f32 v[6:7], v[6:7], v[90:91]                      // 000000006A64: D3B14006 1802B506
	v_pk_mul_f32 v[4:5], v[4:5], s[60:61]                      // 000000006A6C: D3B14004 18007904
	v_pk_mul_f32 v[6:7], v[6:7], s[60:61]                      // 000000006A74: D3B14006 18007906
	v_exp_f32_e32 v4, v4                                       // 000000006A7C: 7E084104
	v_exp_f32_e32 v5, v5                                       // 000000006A80: 7E0A4105
	v_exp_f32_e32 v6, v6                                       // 000000006A84: 7E0C4106
	v_exp_f32_e32 v7, v7                                       // 000000006A88: 7E0E4107
	v_add_f32_e64 v4, v4, 1.0                                  // 000000006A8C: D1010004 0001E504
	v_add_f32_e64 v5, v5, 1.0                                  // 000000006A94: D1010005 0001E505
	v_add_f32_e64 v6, v6, 1.0                                  // 000000006A9C: D1010006 0001E506
	v_add_f32_e64 v7, v7, 1.0                                  // 000000006AA4: D1010007 0001E507
	v_rcp_f32_e32 v4, v4                                       // 000000006AAC: 7E084504
	v_rcp_f32_e32 v5, v5                                       // 000000006AB0: 7E0A4505
	v_rcp_f32_e32 v6, v6                                       // 000000006AB4: 7E0C4506
	v_rcp_f32_e32 v7, v7                                       // 000000006AB8: 7E0E4507
	v_mul_f32_e32 v88, v88, v4                                 // 000000006ABC: 0AB00958
	v_mul_f32_e32 v89, v89, v5                                 // 000000006AC0: 0AB20B59
	v_mul_f32_e32 v90, v90, v6                                 // 000000006AC4: 0AB40D5A
	v_mul_f32_e32 v91, v91, v7                                 // 000000006AC8: 0AB60F5B
	v_mul_f32_e32 v88, v88, v160                               // 000000006ACC: 0AB14158
	v_mul_f32_e32 v89, v89, v161                               // 000000006AD0: 0AB34359
	v_mul_f32_e32 v90, v90, v162                               // 000000006AD4: 0AB5455A
	v_mul_f32_e32 v91, v91, v163                               // 000000006AD8: 0AB7475B
	v_pk_mul_f32 v[4:5], v[92:93], v[92:93]                    // 000000006ADC: D3B14004 1802B95C
	v_pk_mul_f32 v[6:7], v[94:95], v[94:95]                    // 000000006AE4: D3B14006 1802BD5E
	v_pk_fma_f32 v[4:5], v[4:5], s[78:79], v[8:9]              // 000000006AEC: D3B04004 1C209D04
	v_pk_fma_f32 v[6:7], v[6:7], s[78:79], v[8:9]              // 000000006AF4: D3B04006 1C209D06
	v_pk_mul_f32 v[4:5], v[4:5], v[92:93]                      // 000000006AFC: D3B14004 1802B904
	v_pk_mul_f32 v[6:7], v[6:7], v[94:95]                      // 000000006B04: D3B14006 1802BD06
	v_pk_mul_f32 v[4:5], v[4:5], s[60:61]                      // 000000006B0C: D3B14004 18007904
	v_pk_mul_f32 v[6:7], v[6:7], s[60:61]                      // 000000006B14: D3B14006 18007906
	v_exp_f32_e32 v4, v4                                       // 000000006B1C: 7E084104
	v_exp_f32_e32 v5, v5                                       // 000000006B20: 7E0A4105
	v_exp_f32_e32 v6, v6                                       // 000000006B24: 7E0C4106
	v_exp_f32_e32 v7, v7                                       // 000000006B28: 7E0E4107
	v_add_f32_e64 v4, v4, 1.0                                  // 000000006B2C: D1010004 0001E504
	v_add_f32_e64 v5, v5, 1.0                                  // 000000006B34: D1010005 0001E505
	v_add_f32_e64 v6, v6, 1.0                                  // 000000006B3C: D1010006 0001E506
	v_add_f32_e64 v7, v7, 1.0                                  // 000000006B44: D1010007 0001E507
	v_rcp_f32_e32 v4, v4                                       // 000000006B4C: 7E084504
	v_rcp_f32_e32 v5, v5                                       // 000000006B50: 7E0A4505
	v_rcp_f32_e32 v6, v6                                       // 000000006B54: 7E0C4506
	v_rcp_f32_e32 v7, v7                                       // 000000006B58: 7E0E4507
	v_mul_f32_e32 v92, v92, v4                                 // 000000006B5C: 0AB8095C
	v_mul_f32_e32 v93, v93, v5                                 // 000000006B60: 0ABA0B5D
	v_mul_f32_e32 v94, v94, v6                                 // 000000006B64: 0ABC0D5E
	v_mul_f32_e32 v95, v95, v7                                 // 000000006B68: 0ABE0F5F
	v_mul_f32_e32 v92, v92, v164                               // 000000006B6C: 0AB9495C
	v_mul_f32_e32 v93, v93, v165                               // 000000006B70: 0ABB4B5D
	v_mul_f32_e32 v94, v94, v166                               // 000000006B74: 0ABD4D5E
	v_mul_f32_e32 v95, v95, v167                               // 000000006B78: 0ABF4F5F
	v_pk_mul_f32 v[4:5], v[96:97], v[96:97]                    // 000000006B7C: D3B14004 1802C160
	v_pk_mul_f32 v[6:7], v[98:99], v[98:99]                    // 000000006B84: D3B14006 1802C562
	v_pk_fma_f32 v[4:5], v[4:5], s[78:79], v[8:9]              // 000000006B8C: D3B04004 1C209D04
	v_pk_fma_f32 v[6:7], v[6:7], s[78:79], v[8:9]              // 000000006B94: D3B04006 1C209D06
	v_pk_mul_f32 v[4:5], v[4:5], v[96:97]                      // 000000006B9C: D3B14004 1802C104
	v_pk_mul_f32 v[6:7], v[6:7], v[98:99]                      // 000000006BA4: D3B14006 1802C506
	v_pk_mul_f32 v[4:5], v[4:5], s[60:61]                      // 000000006BAC: D3B14004 18007904
	v_pk_mul_f32 v[6:7], v[6:7], s[60:61]                      // 000000006BB4: D3B14006 18007906
	v_exp_f32_e32 v4, v4                                       // 000000006BBC: 7E084104
	v_exp_f32_e32 v5, v5                                       // 000000006BC0: 7E0A4105
	v_exp_f32_e32 v6, v6                                       // 000000006BC4: 7E0C4106
	v_exp_f32_e32 v7, v7                                       // 000000006BC8: 7E0E4107
	v_add_f32_e64 v4, v4, 1.0                                  // 000000006BCC: D1010004 0001E504
	v_add_f32_e64 v5, v5, 1.0                                  // 000000006BD4: D1010005 0001E505
	v_add_f32_e64 v6, v6, 1.0                                  // 000000006BDC: D1010006 0001E506
	v_add_f32_e64 v7, v7, 1.0                                  // 000000006BE4: D1010007 0001E507
	v_rcp_f32_e32 v4, v4                                       // 000000006BEC: 7E084504
	v_rcp_f32_e32 v5, v5                                       // 000000006BF0: 7E0A4505
	v_rcp_f32_e32 v6, v6                                       // 000000006BF4: 7E0C4506
	v_rcp_f32_e32 v7, v7                                       // 000000006BF8: 7E0E4507
	v_mul_f32_e32 v96, v96, v4                                 // 000000006BFC: 0AC00960
	v_mul_f32_e32 v97, v97, v5                                 // 000000006C00: 0AC20B61
	v_mul_f32_e32 v98, v98, v6                                 // 000000006C04: 0AC40D62
	v_mul_f32_e32 v99, v99, v7                                 // 000000006C08: 0AC60F63
	v_mul_f32_e32 v96, v96, v168                               // 000000006C0C: 0AC15160
	v_mul_f32_e32 v97, v97, v169                               // 000000006C10: 0AC35361
	v_mul_f32_e32 v98, v98, v170                               // 000000006C14: 0AC55562
	v_mul_f32_e32 v99, v99, v171                               // 000000006C18: 0AC75763
	v_pk_mul_f32 v[4:5], v[100:101], v[100:101]                // 000000006C1C: D3B14004 1802C964
	v_pk_mul_f32 v[6:7], v[102:103], v[102:103]                // 000000006C24: D3B14006 1802CD66
	v_pk_fma_f32 v[4:5], v[4:5], s[78:79], v[8:9]              // 000000006C2C: D3B04004 1C209D04
	v_pk_fma_f32 v[6:7], v[6:7], s[78:79], v[8:9]              // 000000006C34: D3B04006 1C209D06
	v_pk_mul_f32 v[4:5], v[4:5], v[100:101]                    // 000000006C3C: D3B14004 1802C904
	v_pk_mul_f32 v[6:7], v[6:7], v[102:103]                    // 000000006C44: D3B14006 1802CD06
	v_pk_mul_f32 v[4:5], v[4:5], s[60:61]                      // 000000006C4C: D3B14004 18007904
	v_pk_mul_f32 v[6:7], v[6:7], s[60:61]                      // 000000006C54: D3B14006 18007906
	v_exp_f32_e32 v4, v4                                       // 000000006C5C: 7E084104
	v_exp_f32_e32 v5, v5                                       // 000000006C60: 7E0A4105
	v_exp_f32_e32 v6, v6                                       // 000000006C64: 7E0C4106
	v_exp_f32_e32 v7, v7                                       // 000000006C68: 7E0E4107
	v_add_f32_e64 v4, v4, 1.0                                  // 000000006C6C: D1010004 0001E504
	v_add_f32_e64 v5, v5, 1.0                                  // 000000006C74: D1010005 0001E505
	v_add_f32_e64 v6, v6, 1.0                                  // 000000006C7C: D1010006 0001E506
	v_add_f32_e64 v7, v7, 1.0                                  // 000000006C84: D1010007 0001E507
	v_rcp_f32_e32 v4, v4                                       // 000000006C8C: 7E084504
	v_rcp_f32_e32 v5, v5                                       // 000000006C90: 7E0A4505
	v_rcp_f32_e32 v6, v6                                       // 000000006C94: 7E0C4506
	v_rcp_f32_e32 v7, v7                                       // 000000006C98: 7E0E4507
	v_mul_f32_e32 v100, v100, v4                               // 000000006C9C: 0AC80964
	v_mul_f32_e32 v101, v101, v5                               // 000000006CA0: 0ACA0B65
	v_mul_f32_e32 v102, v102, v6                               // 000000006CA4: 0ACC0D66
	v_mul_f32_e32 v103, v103, v7                               // 000000006CA8: 0ACE0F67
	v_mul_f32_e32 v100, v100, v172                             // 000000006CAC: 0AC95964
	v_mul_f32_e32 v101, v101, v173                             // 000000006CB0: 0ACB5B65
	v_mul_f32_e32 v102, v102, v174                             // 000000006CB4: 0ACD5D66
	v_mul_f32_e32 v103, v103, v175                             // 000000006CB8: 0ACF5F67
	v_pk_mul_f32 v[4:5], v[104:105], v[104:105]                // 000000006CBC: D3B14004 1802D168
	v_pk_mul_f32 v[6:7], v[106:107], v[106:107]                // 000000006CC4: D3B14006 1802D56A
	v_pk_fma_f32 v[4:5], v[4:5], s[78:79], v[8:9]              // 000000006CCC: D3B04004 1C209D04
	v_pk_fma_f32 v[6:7], v[6:7], s[78:79], v[8:9]              // 000000006CD4: D3B04006 1C209D06
	v_pk_mul_f32 v[4:5], v[4:5], v[104:105]                    // 000000006CDC: D3B14004 1802D104
	v_pk_mul_f32 v[6:7], v[6:7], v[106:107]                    // 000000006CE4: D3B14006 1802D506
	v_pk_mul_f32 v[4:5], v[4:5], s[60:61]                      // 000000006CEC: D3B14004 18007904
	v_pk_mul_f32 v[6:7], v[6:7], s[60:61]                      // 000000006CF4: D3B14006 18007906
	v_exp_f32_e32 v4, v4                                       // 000000006CFC: 7E084104
	v_exp_f32_e32 v5, v5                                       // 000000006D00: 7E0A4105
	v_exp_f32_e32 v6, v6                                       // 000000006D04: 7E0C4106
	v_exp_f32_e32 v7, v7                                       // 000000006D08: 7E0E4107
	v_add_f32_e64 v4, v4, 1.0                                  // 000000006D0C: D1010004 0001E504
	v_add_f32_e64 v5, v5, 1.0                                  // 000000006D14: D1010005 0001E505
	v_add_f32_e64 v6, v6, 1.0                                  // 000000006D1C: D1010006 0001E506
	v_add_f32_e64 v7, v7, 1.0                                  // 000000006D24: D1010007 0001E507
	v_rcp_f32_e32 v4, v4                                       // 000000006D2C: 7E084504
	v_rcp_f32_e32 v5, v5                                       // 000000006D30: 7E0A4505
	v_rcp_f32_e32 v6, v6                                       // 000000006D34: 7E0C4506
	v_rcp_f32_e32 v7, v7                                       // 000000006D38: 7E0E4507
	v_mul_f32_e32 v104, v104, v4                               // 000000006D3C: 0AD00968
	v_mul_f32_e32 v105, v105, v5                               // 000000006D40: 0AD20B69
	v_mul_f32_e32 v106, v106, v6                               // 000000006D44: 0AD40D6A
	v_mul_f32_e32 v107, v107, v7                               // 000000006D48: 0AD60F6B
	v_mul_f32_e32 v104, v104, v176                             // 000000006D4C: 0AD16168
	v_mul_f32_e32 v105, v105, v177                             // 000000006D50: 0AD36369
	v_mul_f32_e32 v106, v106, v178                             // 000000006D54: 0AD5656A
	v_mul_f32_e32 v107, v107, v179                             // 000000006D58: 0AD7676B
	v_pk_mul_f32 v[4:5], v[108:109], v[108:109]                // 000000006D5C: D3B14004 1802D96C
	v_pk_mul_f32 v[6:7], v[110:111], v[110:111]                // 000000006D64: D3B14006 1802DD6E
	v_pk_fma_f32 v[4:5], v[4:5], s[78:79], v[8:9]              // 000000006D6C: D3B04004 1C209D04
	v_pk_fma_f32 v[6:7], v[6:7], s[78:79], v[8:9]              // 000000006D74: D3B04006 1C209D06
	v_pk_mul_f32 v[4:5], v[4:5], v[108:109]                    // 000000006D7C: D3B14004 1802D904
	v_pk_mul_f32 v[6:7], v[6:7], v[110:111]                    // 000000006D84: D3B14006 1802DD06
	v_pk_mul_f32 v[4:5], v[4:5], s[60:61]                      // 000000006D8C: D3B14004 18007904
	v_pk_mul_f32 v[6:7], v[6:7], s[60:61]                      // 000000006D94: D3B14006 18007906
	v_exp_f32_e32 v4, v4                                       // 000000006D9C: 7E084104
	v_exp_f32_e32 v5, v5                                       // 000000006DA0: 7E0A4105
	v_exp_f32_e32 v6, v6                                       // 000000006DA4: 7E0C4106
	v_exp_f32_e32 v7, v7                                       // 000000006DA8: 7E0E4107
	v_add_f32_e64 v4, v4, 1.0                                  // 000000006DAC: D1010004 0001E504
	v_add_f32_e64 v5, v5, 1.0                                  // 000000006DB4: D1010005 0001E505
	v_add_f32_e64 v6, v6, 1.0                                  // 000000006DBC: D1010006 0001E506
	v_add_f32_e64 v7, v7, 1.0                                  // 000000006DC4: D1010007 0001E507
	v_rcp_f32_e32 v4, v4                                       // 000000006DCC: 7E084504
	v_rcp_f32_e32 v5, v5                                       // 000000006DD0: 7E0A4505
	v_rcp_f32_e32 v6, v6                                       // 000000006DD4: 7E0C4506
	v_rcp_f32_e32 v7, v7                                       // 000000006DD8: 7E0E4507
	v_mul_f32_e32 v108, v108, v4                               // 000000006DDC: 0AD8096C
	v_mul_f32_e32 v109, v109, v5                               // 000000006DE0: 0ADA0B6D
	v_mul_f32_e32 v110, v110, v6                               // 000000006DE4: 0ADC0D6E
	v_mul_f32_e32 v111, v111, v7                               // 000000006DE8: 0ADE0F6F
	v_mul_f32_e32 v108, v108, v180                             // 000000006DEC: 0AD9696C
	v_mul_f32_e32 v109, v109, v181                             // 000000006DF0: 0ADB6B6D
	v_mul_f32_e32 v110, v110, v182                             // 000000006DF4: 0ADD6D6E
	v_mul_f32_e32 v111, v111, v183                             // 000000006DF8: 0ADF6F6F
	v_pk_mul_f32 v[4:5], v[112:113], v[112:113]                // 000000006DFC: D3B14004 1802E170
	v_pk_mul_f32 v[6:7], v[114:115], v[114:115]                // 000000006E04: D3B14006 1802E572
	v_pk_fma_f32 v[4:5], v[4:5], s[78:79], v[8:9]              // 000000006E0C: D3B04004 1C209D04
	v_pk_fma_f32 v[6:7], v[6:7], s[78:79], v[8:9]              // 000000006E14: D3B04006 1C209D06
	v_pk_mul_f32 v[4:5], v[4:5], v[112:113]                    // 000000006E1C: D3B14004 1802E104
	v_pk_mul_f32 v[6:7], v[6:7], v[114:115]                    // 000000006E24: D3B14006 1802E506
	v_pk_mul_f32 v[4:5], v[4:5], s[60:61]                      // 000000006E2C: D3B14004 18007904
	v_pk_mul_f32 v[6:7], v[6:7], s[60:61]                      // 000000006E34: D3B14006 18007906
	v_exp_f32_e32 v4, v4                                       // 000000006E3C: 7E084104
	v_exp_f32_e32 v5, v5                                       // 000000006E40: 7E0A4105
	v_exp_f32_e32 v6, v6                                       // 000000006E44: 7E0C4106
	v_exp_f32_e32 v7, v7                                       // 000000006E48: 7E0E4107
	v_add_f32_e64 v4, v4, 1.0                                  // 000000006E4C: D1010004 0001E504
	v_add_f32_e64 v5, v5, 1.0                                  // 000000006E54: D1010005 0001E505
	v_add_f32_e64 v6, v6, 1.0                                  // 000000006E5C: D1010006 0001E506
	v_add_f32_e64 v7, v7, 1.0                                  // 000000006E64: D1010007 0001E507
	v_rcp_f32_e32 v4, v4                                       // 000000006E6C: 7E084504
	v_rcp_f32_e32 v5, v5                                       // 000000006E70: 7E0A4505
	v_rcp_f32_e32 v6, v6                                       // 000000006E74: 7E0C4506
	v_rcp_f32_e32 v7, v7                                       // 000000006E78: 7E0E4507
	v_mul_f32_e32 v112, v112, v4                               // 000000006E7C: 0AE00970
	v_mul_f32_e32 v113, v113, v5                               // 000000006E80: 0AE20B71
	v_mul_f32_e32 v114, v114, v6                               // 000000006E84: 0AE40D72
	v_mul_f32_e32 v115, v115, v7                               // 000000006E88: 0AE60F73
	v_mul_f32_e32 v112, v112, v184                             // 000000006E8C: 0AE17170
	v_mul_f32_e32 v113, v113, v185                             // 000000006E90: 0AE37371
	v_mul_f32_e32 v114, v114, v186                             // 000000006E94: 0AE57572
	v_mul_f32_e32 v115, v115, v187                             // 000000006E98: 0AE77773
	v_pk_mul_f32 v[4:5], v[116:117], v[116:117]                // 000000006E9C: D3B14004 1802E974
	v_pk_mul_f32 v[6:7], v[118:119], v[118:119]                // 000000006EA4: D3B14006 1802ED76
	v_pk_fma_f32 v[4:5], v[4:5], s[78:79], v[8:9]              // 000000006EAC: D3B04004 1C209D04
	v_pk_fma_f32 v[6:7], v[6:7], s[78:79], v[8:9]              // 000000006EB4: D3B04006 1C209D06
	v_pk_mul_f32 v[4:5], v[4:5], v[116:117]                    // 000000006EBC: D3B14004 1802E904
	v_pk_mul_f32 v[6:7], v[6:7], v[118:119]                    // 000000006EC4: D3B14006 1802ED06
	v_pk_mul_f32 v[4:5], v[4:5], s[60:61]                      // 000000006ECC: D3B14004 18007904
	v_pk_mul_f32 v[6:7], v[6:7], s[60:61]                      // 000000006ED4: D3B14006 18007906
	v_exp_f32_e32 v4, v4                                       // 000000006EDC: 7E084104
	v_exp_f32_e32 v5, v5                                       // 000000006EE0: 7E0A4105
	v_exp_f32_e32 v6, v6                                       // 000000006EE4: 7E0C4106
	v_exp_f32_e32 v7, v7                                       // 000000006EE8: 7E0E4107
	v_add_f32_e64 v4, v4, 1.0                                  // 000000006EEC: D1010004 0001E504
	v_add_f32_e64 v5, v5, 1.0                                  // 000000006EF4: D1010005 0001E505
	v_add_f32_e64 v6, v6, 1.0                                  // 000000006EFC: D1010006 0001E506
	v_add_f32_e64 v7, v7, 1.0                                  // 000000006F04: D1010007 0001E507
	v_rcp_f32_e32 v4, v4                                       // 000000006F0C: 7E084504
	v_rcp_f32_e32 v5, v5                                       // 000000006F10: 7E0A4505
	v_rcp_f32_e32 v6, v6                                       // 000000006F14: 7E0C4506
	v_rcp_f32_e32 v7, v7                                       // 000000006F18: 7E0E4507
	v_mul_f32_e32 v116, v116, v4                               // 000000006F1C: 0AE80974
	v_mul_f32_e32 v117, v117, v5                               // 000000006F20: 0AEA0B75
	v_mul_f32_e32 v118, v118, v6                               // 000000006F24: 0AEC0D76
	v_mul_f32_e32 v119, v119, v7                               // 000000006F28: 0AEE0F77
	v_mul_f32_e32 v116, v116, v188                             // 000000006F2C: 0AE97974
	v_mul_f32_e32 v117, v117, v189                             // 000000006F30: 0AEB7B75
	v_mul_f32_e32 v118, v118, v190                             // 000000006F34: 0AED7D76
	v_mul_f32_e32 v119, v119, v191                             // 000000006F38: 0AEF7F77
	v_pk_mul_f32 v[4:5], v[120:121], v[120:121]                // 000000006F3C: D3B14004 1802F178
	v_pk_mul_f32 v[6:7], v[122:123], v[122:123]                // 000000006F44: D3B14006 1802F57A
	v_pk_fma_f32 v[4:5], v[4:5], s[78:79], v[8:9]              // 000000006F4C: D3B04004 1C209D04
	v_pk_fma_f32 v[6:7], v[6:7], s[78:79], v[8:9]              // 000000006F54: D3B04006 1C209D06
	v_pk_mul_f32 v[4:5], v[4:5], v[120:121]                    // 000000006F5C: D3B14004 1802F104
	v_pk_mul_f32 v[6:7], v[6:7], v[122:123]                    // 000000006F64: D3B14006 1802F506
	v_pk_mul_f32 v[4:5], v[4:5], s[60:61]                      // 000000006F6C: D3B14004 18007904
	v_pk_mul_f32 v[6:7], v[6:7], s[60:61]                      // 000000006F74: D3B14006 18007906
	v_exp_f32_e32 v4, v4                                       // 000000006F7C: 7E084104
	v_exp_f32_e32 v5, v5                                       // 000000006F80: 7E0A4105
	v_exp_f32_e32 v6, v6                                       // 000000006F84: 7E0C4106
	v_exp_f32_e32 v7, v7                                       // 000000006F88: 7E0E4107
	v_add_f32_e64 v4, v4, 1.0                                  // 000000006F8C: D1010004 0001E504
	v_add_f32_e64 v5, v5, 1.0                                  // 000000006F94: D1010005 0001E505
	v_add_f32_e64 v6, v6, 1.0                                  // 000000006F9C: D1010006 0001E506
	v_add_f32_e64 v7, v7, 1.0                                  // 000000006FA4: D1010007 0001E507
	v_rcp_f32_e32 v4, v4                                       // 000000006FAC: 7E084504
	v_rcp_f32_e32 v5, v5                                       // 000000006FB0: 7E0A4505
	v_rcp_f32_e32 v6, v6                                       // 000000006FB4: 7E0C4506
	v_rcp_f32_e32 v7, v7                                       // 000000006FB8: 7E0E4507
	v_mul_f32_e32 v120, v120, v4                               // 000000006FBC: 0AF00978
	v_mul_f32_e32 v121, v121, v5                               // 000000006FC0: 0AF20B79
	v_mul_f32_e32 v122, v122, v6                               // 000000006FC4: 0AF40D7A
	v_mul_f32_e32 v123, v123, v7                               // 000000006FC8: 0AF60F7B
	v_mul_f32_e32 v120, v120, v192                             // 000000006FCC: 0AF18178
	v_mul_f32_e32 v121, v121, v193                             // 000000006FD0: 0AF38379
	v_mul_f32_e32 v122, v122, v194                             // 000000006FD4: 0AF5857A
	v_mul_f32_e32 v123, v123, v195                             // 000000006FD8: 0AF7877B
	v_pk_mul_f32 v[4:5], v[124:125], v[124:125]                // 000000006FDC: D3B14004 1802F97C
	v_pk_mul_f32 v[6:7], v[126:127], v[126:127]                // 000000006FE4: D3B14006 1802FD7E
	v_pk_fma_f32 v[4:5], v[4:5], s[78:79], v[8:9]              // 000000006FEC: D3B04004 1C209D04
	v_pk_fma_f32 v[6:7], v[6:7], s[78:79], v[8:9]              // 000000006FF4: D3B04006 1C209D06
	v_pk_mul_f32 v[4:5], v[4:5], v[124:125]                    // 000000006FFC: D3B14004 1802F904
	v_pk_mul_f32 v[6:7], v[6:7], v[126:127]                    // 000000007004: D3B14006 1802FD06
	v_pk_mul_f32 v[4:5], v[4:5], s[60:61]                      // 00000000700C: D3B14004 18007904
	v_pk_mul_f32 v[6:7], v[6:7], s[60:61]                      // 000000007014: D3B14006 18007906
	v_exp_f32_e32 v4, v4                                       // 00000000701C: 7E084104
	v_exp_f32_e32 v5, v5                                       // 000000007020: 7E0A4105
	v_exp_f32_e32 v6, v6                                       // 000000007024: 7E0C4106
	v_exp_f32_e32 v7, v7                                       // 000000007028: 7E0E4107
	v_add_f32_e64 v4, v4, 1.0                                  // 00000000702C: D1010004 0001E504
	v_add_f32_e64 v5, v5, 1.0                                  // 000000007034: D1010005 0001E505
	v_add_f32_e64 v6, v6, 1.0                                  // 00000000703C: D1010006 0001E506
	v_add_f32_e64 v7, v7, 1.0                                  // 000000007044: D1010007 0001E507
	v_rcp_f32_e32 v4, v4                                       // 00000000704C: 7E084504
	v_rcp_f32_e32 v5, v5                                       // 000000007050: 7E0A4505
	v_rcp_f32_e32 v6, v6                                       // 000000007054: 7E0C4506
	v_rcp_f32_e32 v7, v7                                       // 000000007058: 7E0E4507
	v_mul_f32_e32 v124, v124, v4                               // 00000000705C: 0AF8097C
	v_mul_f32_e32 v125, v125, v5                               // 000000007060: 0AFA0B7D
	v_mul_f32_e32 v126, v126, v6                               // 000000007064: 0AFC0D7E
	v_mul_f32_e32 v127, v127, v7                               // 000000007068: 0AFE0F7F
	v_mul_f32_e32 v124, v124, v196                             // 00000000706C: 0AF9897C
	v_mul_f32_e32 v125, v125, v197                             // 000000007070: 0AFB8B7D
	v_mul_f32_e32 v126, v126, v198                             // 000000007074: 0AFD8D7E
	v_mul_f32_e32 v127, v127, v199                             // 000000007078: 0AFF8F7F
	v_pk_mul_f32 v[4:5], v[128:129], v[128:129]                // 00000000707C: D3B14004 18030180
	v_pk_mul_f32 v[6:7], v[130:131], v[130:131]                // 000000007084: D3B14006 18030582
	v_pk_fma_f32 v[4:5], v[4:5], s[78:79], v[8:9]              // 00000000708C: D3B04004 1C209D04
	v_pk_fma_f32 v[6:7], v[6:7], s[78:79], v[8:9]              // 000000007094: D3B04006 1C209D06
	v_pk_mul_f32 v[4:5], v[4:5], v[128:129]                    // 00000000709C: D3B14004 18030104
	v_pk_mul_f32 v[6:7], v[6:7], v[130:131]                    // 0000000070A4: D3B14006 18030506
	v_pk_mul_f32 v[4:5], v[4:5], s[60:61]                      // 0000000070AC: D3B14004 18007904
	v_pk_mul_f32 v[6:7], v[6:7], s[60:61]                      // 0000000070B4: D3B14006 18007906
	v_exp_f32_e32 v4, v4                                       // 0000000070BC: 7E084104
	v_exp_f32_e32 v5, v5                                       // 0000000070C0: 7E0A4105
	v_exp_f32_e32 v6, v6                                       // 0000000070C4: 7E0C4106
	v_exp_f32_e32 v7, v7                                       // 0000000070C8: 7E0E4107
	v_add_f32_e64 v4, v4, 1.0                                  // 0000000070CC: D1010004 0001E504
	v_add_f32_e64 v5, v5, 1.0                                  // 0000000070D4: D1010005 0001E505
	v_add_f32_e64 v6, v6, 1.0                                  // 0000000070DC: D1010006 0001E506
	v_add_f32_e64 v7, v7, 1.0                                  // 0000000070E4: D1010007 0001E507
	v_rcp_f32_e32 v4, v4                                       // 0000000070EC: 7E084504
	v_rcp_f32_e32 v5, v5                                       // 0000000070F0: 7E0A4505
	v_rcp_f32_e32 v6, v6                                       // 0000000070F4: 7E0C4506
	v_rcp_f32_e32 v7, v7                                       // 0000000070F8: 7E0E4507
	v_mul_f32_e32 v128, v128, v4                               // 0000000070FC: 0B000980
	v_mul_f32_e32 v129, v129, v5                               // 000000007100: 0B020B81
	v_mul_f32_e32 v130, v130, v6                               // 000000007104: 0B040D82
	v_mul_f32_e32 v131, v131, v7                               // 000000007108: 0B060F83
	v_mul_f32_e32 v128, v128, v200                             // 00000000710C: 0B019180
	v_mul_f32_e32 v129, v129, v201                             // 000000007110: 0B039381
	v_mul_f32_e32 v130, v130, v202                             // 000000007114: 0B059582
	v_mul_f32_e32 v131, v131, v203                             // 000000007118: 0B079783
	v_pk_mul_f32 v[4:5], v[132:133], v[132:133]                // 00000000711C: D3B14004 18030984
	v_pk_mul_f32 v[6:7], v[134:135], v[134:135]                // 000000007124: D3B14006 18030D86
	v_pk_fma_f32 v[4:5], v[4:5], s[78:79], v[8:9]              // 00000000712C: D3B04004 1C209D04
	v_pk_fma_f32 v[6:7], v[6:7], s[78:79], v[8:9]              // 000000007134: D3B04006 1C209D06
	v_pk_mul_f32 v[4:5], v[4:5], v[132:133]                    // 00000000713C: D3B14004 18030904
	v_pk_mul_f32 v[6:7], v[6:7], v[134:135]                    // 000000007144: D3B14006 18030D06
	v_pk_mul_f32 v[4:5], v[4:5], s[60:61]                      // 00000000714C: D3B14004 18007904
	v_pk_mul_f32 v[6:7], v[6:7], s[60:61]                      // 000000007154: D3B14006 18007906
	v_exp_f32_e32 v4, v4                                       // 00000000715C: 7E084104
	v_exp_f32_e32 v5, v5                                       // 000000007160: 7E0A4105
	v_exp_f32_e32 v6, v6                                       // 000000007164: 7E0C4106
	v_exp_f32_e32 v7, v7                                       // 000000007168: 7E0E4107
	v_add_f32_e64 v4, v4, 1.0                                  // 00000000716C: D1010004 0001E504
	v_add_f32_e64 v5, v5, 1.0                                  // 000000007174: D1010005 0001E505
	v_add_f32_e64 v6, v6, 1.0                                  // 00000000717C: D1010006 0001E506
	v_add_f32_e64 v7, v7, 1.0                                  // 000000007184: D1010007 0001E507
	v_rcp_f32_e32 v4, v4                                       // 00000000718C: 7E084504
	v_rcp_f32_e32 v5, v5                                       // 000000007190: 7E0A4505
	v_rcp_f32_e32 v6, v6                                       // 000000007194: 7E0C4506
	v_rcp_f32_e32 v7, v7                                       // 000000007198: 7E0E4507
	v_mul_f32_e32 v132, v132, v4                               // 00000000719C: 0B080984
	v_mul_f32_e32 v133, v133, v5                               // 0000000071A0: 0B0A0B85
	v_mul_f32_e32 v134, v134, v6                               // 0000000071A4: 0B0C0D86
	v_mul_f32_e32 v135, v135, v7                               // 0000000071A8: 0B0E0F87
	v_mul_f32_e32 v132, v132, v204                             // 0000000071AC: 0B099984
	v_mul_f32_e32 v133, v133, v205                             // 0000000071B0: 0B0B9B85
	v_mul_f32_e32 v134, v134, v206                             // 0000000071B4: 0B0D9D86
	v_mul_f32_e32 v135, v135, v207                             // 0000000071B8: 0B0F9F87
	v_pk_mul_f32 v[4:5], v[136:137], v[136:137]                // 0000000071BC: D3B14004 18031188
	v_pk_mul_f32 v[6:7], v[138:139], v[138:139]                // 0000000071C4: D3B14006 1803158A
	v_pk_fma_f32 v[4:5], v[4:5], s[78:79], v[8:9]              // 0000000071CC: D3B04004 1C209D04
	v_pk_fma_f32 v[6:7], v[6:7], s[78:79], v[8:9]              // 0000000071D4: D3B04006 1C209D06
	v_pk_mul_f32 v[4:5], v[4:5], v[136:137]                    // 0000000071DC: D3B14004 18031104
	v_pk_mul_f32 v[6:7], v[6:7], v[138:139]                    // 0000000071E4: D3B14006 18031506
	v_pk_mul_f32 v[4:5], v[4:5], s[60:61]                      // 0000000071EC: D3B14004 18007904
	v_pk_mul_f32 v[6:7], v[6:7], s[60:61]                      // 0000000071F4: D3B14006 18007906
	v_exp_f32_e32 v4, v4                                       // 0000000071FC: 7E084104
	v_exp_f32_e32 v5, v5                                       // 000000007200: 7E0A4105
	v_exp_f32_e32 v6, v6                                       // 000000007204: 7E0C4106
	v_exp_f32_e32 v7, v7                                       // 000000007208: 7E0E4107
	v_add_f32_e64 v4, v4, 1.0                                  // 00000000720C: D1010004 0001E504
	v_add_f32_e64 v5, v5, 1.0                                  // 000000007214: D1010005 0001E505
	v_add_f32_e64 v6, v6, 1.0                                  // 00000000721C: D1010006 0001E506
	v_add_f32_e64 v7, v7, 1.0                                  // 000000007224: D1010007 0001E507
	v_rcp_f32_e32 v4, v4                                       // 00000000722C: 7E084504
	v_rcp_f32_e32 v5, v5                                       // 000000007230: 7E0A4505
	v_rcp_f32_e32 v6, v6                                       // 000000007234: 7E0C4506
	v_rcp_f32_e32 v7, v7                                       // 000000007238: 7E0E4507
	v_mul_f32_e32 v136, v136, v4                               // 00000000723C: 0B100988
	v_mul_f32_e32 v137, v137, v5                               // 000000007240: 0B120B89
	v_mul_f32_e32 v138, v138, v6                               // 000000007244: 0B140D8A
	v_mul_f32_e32 v139, v139, v7                               // 000000007248: 0B160F8B
	v_mul_f32_e32 v136, v136, v208                             // 00000000724C: 0B11A188
	v_mul_f32_e32 v137, v137, v209                             // 000000007250: 0B13A389
	v_mul_f32_e32 v138, v138, v210                             // 000000007254: 0B15A58A
	v_mul_f32_e32 v139, v139, v211                             // 000000007258: 0B17A78B
	v_pk_mul_f32 v[4:5], v[140:141], v[140:141]                // 00000000725C: D3B14004 1803198C
	v_pk_mul_f32 v[6:7], v[142:143], v[142:143]                // 000000007264: D3B14006 18031D8E
	v_pk_fma_f32 v[4:5], v[4:5], s[78:79], v[8:9]              // 00000000726C: D3B04004 1C209D04
	v_pk_fma_f32 v[6:7], v[6:7], s[78:79], v[8:9]              // 000000007274: D3B04006 1C209D06
	v_pk_mul_f32 v[4:5], v[4:5], v[140:141]                    // 00000000727C: D3B14004 18031904
	v_pk_mul_f32 v[6:7], v[6:7], v[142:143]                    // 000000007284: D3B14006 18031D06
	v_pk_mul_f32 v[4:5], v[4:5], s[60:61]                      // 00000000728C: D3B14004 18007904
	v_pk_mul_f32 v[6:7], v[6:7], s[60:61]                      // 000000007294: D3B14006 18007906
	v_exp_f32_e32 v4, v4                                       // 00000000729C: 7E084104
	v_exp_f32_e32 v5, v5                                       // 0000000072A0: 7E0A4105
	v_exp_f32_e32 v6, v6                                       // 0000000072A4: 7E0C4106
	v_exp_f32_e32 v7, v7                                       // 0000000072A8: 7E0E4107
	v_add_f32_e64 v4, v4, 1.0                                  // 0000000072AC: D1010004 0001E504
	v_add_f32_e64 v5, v5, 1.0                                  // 0000000072B4: D1010005 0001E505
	v_add_f32_e64 v6, v6, 1.0                                  // 0000000072BC: D1010006 0001E506
	v_add_f32_e64 v7, v7, 1.0                                  // 0000000072C4: D1010007 0001E507
	v_rcp_f32_e32 v4, v4                                       // 0000000072CC: 7E084504
	v_rcp_f32_e32 v5, v5                                       // 0000000072D0: 7E0A4505
	v_rcp_f32_e32 v6, v6                                       // 0000000072D4: 7E0C4506
	v_rcp_f32_e32 v7, v7                                       // 0000000072D8: 7E0E4507
	v_mul_f32_e32 v140, v140, v4                               // 0000000072DC: 0B18098C
	v_mul_f32_e32 v141, v141, v5                               // 0000000072E0: 0B1A0B8D
	v_mul_f32_e32 v142, v142, v6                               // 0000000072E4: 0B1C0D8E
	v_mul_f32_e32 v143, v143, v7                               // 0000000072E8: 0B1E0F8F
	v_mul_f32_e32 v140, v140, v212                             // 0000000072EC: 0B19A98C
	v_mul_f32_e32 v141, v141, v213                             // 0000000072F0: 0B1BAB8D
	v_mul_f32_e32 v142, v142, v214                             // 0000000072F4: 0B1DAD8E
	v_mul_f32_e32 v143, v143, v215                             // 0000000072F8: 0B1FAF8F
	v_pk_mul_f32 v[4:5], v[144:145], v[144:145]                // 0000000072FC: D3B14004 18032190
	v_pk_mul_f32 v[6:7], v[146:147], v[146:147]                // 000000007304: D3B14006 18032592
	v_pk_fma_f32 v[4:5], v[4:5], s[78:79], v[8:9]              // 00000000730C: D3B04004 1C209D04
	v_pk_fma_f32 v[6:7], v[6:7], s[78:79], v[8:9]              // 000000007314: D3B04006 1C209D06
	v_pk_mul_f32 v[4:5], v[4:5], v[144:145]                    // 00000000731C: D3B14004 18032104
	v_pk_mul_f32 v[6:7], v[6:7], v[146:147]                    // 000000007324: D3B14006 18032506
	v_pk_mul_f32 v[4:5], v[4:5], s[60:61]                      // 00000000732C: D3B14004 18007904
	v_pk_mul_f32 v[6:7], v[6:7], s[60:61]                      // 000000007334: D3B14006 18007906
	v_exp_f32_e32 v4, v4                                       // 00000000733C: 7E084104
	v_exp_f32_e32 v5, v5                                       // 000000007340: 7E0A4105
	v_exp_f32_e32 v6, v6                                       // 000000007344: 7E0C4106
	v_exp_f32_e32 v7, v7                                       // 000000007348: 7E0E4107
	v_add_f32_e64 v4, v4, 1.0                                  // 00000000734C: D1010004 0001E504
	v_add_f32_e64 v5, v5, 1.0                                  // 000000007354: D1010005 0001E505
	v_add_f32_e64 v6, v6, 1.0                                  // 00000000735C: D1010006 0001E506
	v_add_f32_e64 v7, v7, 1.0                                  // 000000007364: D1010007 0001E507
	v_rcp_f32_e32 v4, v4                                       // 00000000736C: 7E084504
	v_rcp_f32_e32 v5, v5                                       // 000000007370: 7E0A4505
	v_rcp_f32_e32 v6, v6                                       // 000000007374: 7E0C4506
	v_rcp_f32_e32 v7, v7                                       // 000000007378: 7E0E4507
	v_mul_f32_e32 v144, v144, v4                               // 00000000737C: 0B200990
	v_mul_f32_e32 v145, v145, v5                               // 000000007380: 0B220B91
	v_mul_f32_e32 v146, v146, v6                               // 000000007384: 0B240D92
	v_mul_f32_e32 v147, v147, v7                               // 000000007388: 0B260F93
	v_mul_f32_e32 v144, v144, v216                             // 00000000738C: 0B21B190
	v_mul_f32_e32 v145, v145, v217                             // 000000007390: 0B23B391
	v_mul_f32_e32 v146, v146, v218                             // 000000007394: 0B25B592
	v_mul_f32_e32 v147, v147, v219                             // 000000007398: 0B27B793
	v_pk_mul_f32 v[4:5], v[148:149], v[148:149]                // 00000000739C: D3B14004 18032994
	v_pk_mul_f32 v[6:7], v[150:151], v[150:151]                // 0000000073A4: D3B14006 18032D96
	v_pk_fma_f32 v[4:5], v[4:5], s[78:79], v[8:9]              // 0000000073AC: D3B04004 1C209D04
	v_pk_fma_f32 v[6:7], v[6:7], s[78:79], v[8:9]              // 0000000073B4: D3B04006 1C209D06
	v_pk_mul_f32 v[4:5], v[4:5], v[148:149]                    // 0000000073BC: D3B14004 18032904
	v_pk_mul_f32 v[6:7], v[6:7], v[150:151]                    // 0000000073C4: D3B14006 18032D06
	v_pk_mul_f32 v[4:5], v[4:5], s[60:61]                      // 0000000073CC: D3B14004 18007904
	v_pk_mul_f32 v[6:7], v[6:7], s[60:61]                      // 0000000073D4: D3B14006 18007906
	v_exp_f32_e32 v4, v4                                       // 0000000073DC: 7E084104
	v_exp_f32_e32 v5, v5                                       // 0000000073E0: 7E0A4105
	v_exp_f32_e32 v6, v6                                       // 0000000073E4: 7E0C4106
	v_exp_f32_e32 v7, v7                                       // 0000000073E8: 7E0E4107
	v_add_f32_e64 v4, v4, 1.0                                  // 0000000073EC: D1010004 0001E504
	v_add_f32_e64 v5, v5, 1.0                                  // 0000000073F4: D1010005 0001E505
	v_add_f32_e64 v6, v6, 1.0                                  // 0000000073FC: D1010006 0001E506
	v_add_f32_e64 v7, v7, 1.0                                  // 000000007404: D1010007 0001E507
	v_rcp_f32_e32 v4, v4                                       // 00000000740C: 7E084504
	v_rcp_f32_e32 v5, v5                                       // 000000007410: 7E0A4505
	v_rcp_f32_e32 v6, v6                                       // 000000007414: 7E0C4506
	v_rcp_f32_e32 v7, v7                                       // 000000007418: 7E0E4507
	v_mul_f32_e32 v148, v148, v4                               // 00000000741C: 0B280994
	v_mul_f32_e32 v149, v149, v5                               // 000000007420: 0B2A0B95
	v_mul_f32_e32 v150, v150, v6                               // 000000007424: 0B2C0D96
	v_mul_f32_e32 v151, v151, v7                               // 000000007428: 0B2E0F97
	v_mul_f32_e32 v148, v148, v220                             // 00000000742C: 0B29B994
	v_mul_f32_e32 v149, v149, v221                             // 000000007430: 0B2BBB95
	v_mul_f32_e32 v150, v150, v222                             // 000000007434: 0B2DBD96
	v_mul_f32_e32 v151, v151, v223                             // 000000007438: 0B2FBF97
	v_pk_mul_f32 v[4:5], v[152:153], v[152:153]                // 00000000743C: D3B14004 18033198
	v_pk_mul_f32 v[6:7], v[154:155], v[154:155]                // 000000007444: D3B14006 1803359A
	v_pk_fma_f32 v[4:5], v[4:5], s[78:79], v[8:9]              // 00000000744C: D3B04004 1C209D04
	v_pk_fma_f32 v[6:7], v[6:7], s[78:79], v[8:9]              // 000000007454: D3B04006 1C209D06
	v_pk_mul_f32 v[4:5], v[4:5], v[152:153]                    // 00000000745C: D3B14004 18033104
	v_pk_mul_f32 v[6:7], v[6:7], v[154:155]                    // 000000007464: D3B14006 18033506
	v_pk_mul_f32 v[4:5], v[4:5], s[60:61]                      // 00000000746C: D3B14004 18007904
	v_pk_mul_f32 v[6:7], v[6:7], s[60:61]                      // 000000007474: D3B14006 18007906
	v_exp_f32_e32 v4, v4                                       // 00000000747C: 7E084104
	v_exp_f32_e32 v5, v5                                       // 000000007480: 7E0A4105
	v_exp_f32_e32 v6, v6                                       // 000000007484: 7E0C4106
	v_exp_f32_e32 v7, v7                                       // 000000007488: 7E0E4107
	v_add_f32_e64 v4, v4, 1.0                                  // 00000000748C: D1010004 0001E504
	v_add_f32_e64 v5, v5, 1.0                                  // 000000007494: D1010005 0001E505
	v_add_f32_e64 v6, v6, 1.0                                  // 00000000749C: D1010006 0001E506
	v_add_f32_e64 v7, v7, 1.0                                  // 0000000074A4: D1010007 0001E507
	v_rcp_f32_e32 v4, v4                                       // 0000000074AC: 7E084504
	v_rcp_f32_e32 v5, v5                                       // 0000000074B0: 7E0A4505
	v_rcp_f32_e32 v6, v6                                       // 0000000074B4: 7E0C4506
	v_rcp_f32_e32 v7, v7                                       // 0000000074B8: 7E0E4507
	v_mul_f32_e32 v152, v152, v4                               // 0000000074BC: 0B300998
	v_mul_f32_e32 v153, v153, v5                               // 0000000074C0: 0B320B99
	v_mul_f32_e32 v154, v154, v6                               // 0000000074C4: 0B340D9A
	v_mul_f32_e32 v155, v155, v7                               // 0000000074C8: 0B360F9B
	v_mul_f32_e32 v152, v152, v224                             // 0000000074CC: 0B31C198
	v_mul_f32_e32 v153, v153, v225                             // 0000000074D0: 0B33C399
	v_mul_f32_e32 v154, v154, v226                             // 0000000074D4: 0B35C59A
	v_mul_f32_e32 v155, v155, v227                             // 0000000074D8: 0B37C79B
	v_pk_mul_f32 v[4:5], v[156:157], v[156:157]                // 0000000074DC: D3B14004 1803399C
	v_pk_mul_f32 v[6:7], v[158:159], v[158:159]                // 0000000074E4: D3B14006 18033D9E
	v_pk_fma_f32 v[4:5], v[4:5], s[78:79], v[8:9]              // 0000000074EC: D3B04004 1C209D04
	v_pk_fma_f32 v[6:7], v[6:7], s[78:79], v[8:9]              // 0000000074F4: D3B04006 1C209D06
	v_pk_mul_f32 v[4:5], v[4:5], v[156:157]                    // 0000000074FC: D3B14004 18033904
	v_pk_mul_f32 v[6:7], v[6:7], v[158:159]                    // 000000007504: D3B14006 18033D06
	v_pk_mul_f32 v[4:5], v[4:5], s[60:61]                      // 00000000750C: D3B14004 18007904
	v_pk_mul_f32 v[6:7], v[6:7], s[60:61]                      // 000000007514: D3B14006 18007906
	v_exp_f32_e32 v4, v4                                       // 00000000751C: 7E084104
	v_exp_f32_e32 v5, v5                                       // 000000007520: 7E0A4105
	v_exp_f32_e32 v6, v6                                       // 000000007524: 7E0C4106
	v_exp_f32_e32 v7, v7                                       // 000000007528: 7E0E4107
	v_add_f32_e64 v4, v4, 1.0                                  // 00000000752C: D1010004 0001E504
	v_add_f32_e64 v5, v5, 1.0                                  // 000000007534: D1010005 0001E505
	v_add_f32_e64 v6, v6, 1.0                                  // 00000000753C: D1010006 0001E506
	v_add_f32_e64 v7, v7, 1.0                                  // 000000007544: D1010007 0001E507
	v_rcp_f32_e32 v4, v4                                       // 00000000754C: 7E084504
	v_rcp_f32_e32 v5, v5                                       // 000000007550: 7E0A4505
	v_rcp_f32_e32 v6, v6                                       // 000000007554: 7E0C4506
	v_rcp_f32_e32 v7, v7                                       // 000000007558: 7E0E4507
	v_mul_f32_e32 v156, v156, v4                               // 00000000755C: 0B38099C
	v_mul_f32_e32 v157, v157, v5                               // 000000007560: 0B3A0B9D
	v_mul_f32_e32 v158, v158, v6                               // 000000007564: 0B3C0D9E
	v_mul_f32_e32 v159, v159, v7                               // 000000007568: 0B3E0F9F
	v_mul_f32_e32 v156, v156, v228                             // 00000000756C: 0B39C99C
	v_mul_f32_e32 v157, v157, v229                             // 000000007570: 0B3BCB9D
	v_mul_f32_e32 v158, v158, v230                             // 000000007574: 0B3DCD9E
	v_mul_f32_e32 v159, v159, v231                             // 000000007578: 0B3FCF9F
	s_branch label_1520                                        // 00000000757C: BF820240

0000000000007580 <label_12E0>:
	v_mul_f32_e64 v4, -v88, s6                                 // 000000007580: D1050004 20000D58
	v_mul_f32_e64 v5, -v89, s6                                 // 000000007588: D1050005 20000D59
	v_mul_f32_e64 v6, -v90, s6                                 // 000000007590: D1050006 20000D5A
	v_mul_f32_e64 v7, -v91, s6                                 // 000000007598: D1050007 20000D5B
	v_exp_f32_e32 v4, v4                                       // 0000000075A0: 7E084104
	v_exp_f32_e32 v5, v5                                       // 0000000075A4: 7E0A4105
	v_exp_f32_e32 v6, v6                                       // 0000000075A8: 7E0C4106
	v_exp_f32_e32 v7, v7                                       // 0000000075AC: 7E0E4107
	v_add_f32_e64 v4, v4, 1.0                                  // 0000000075B0: D1010004 0001E504
	v_add_f32_e64 v5, v5, 1.0                                  // 0000000075B8: D1010005 0001E505
	v_add_f32_e64 v6, v6, 1.0                                  // 0000000075C0: D1010006 0001E506
	v_add_f32_e64 v7, v7, 1.0                                  // 0000000075C8: D1010007 0001E507
	v_rcp_f32_e32 v4, v4                                       // 0000000075D0: 7E084504
	v_rcp_f32_e32 v5, v5                                       // 0000000075D4: 7E0A4505
	v_rcp_f32_e32 v6, v6                                       // 0000000075D8: 7E0C4506
	v_rcp_f32_e32 v7, v7                                       // 0000000075DC: 7E0E4507
	v_mul_f32_e32 v88, v88, v4                                 // 0000000075E0: 0AB00958
	v_mul_f32_e32 v89, v89, v5                                 // 0000000075E4: 0AB20B59
	v_mul_f32_e32 v90, v90, v6                                 // 0000000075E8: 0AB40D5A
	v_mul_f32_e32 v91, v91, v7                                 // 0000000075EC: 0AB60F5B
	v_mul_f32_e32 v88, v88, v160                               // 0000000075F0: 0AB14158
	v_mul_f32_e32 v89, v89, v161                               // 0000000075F4: 0AB34359
	v_mul_f32_e32 v90, v90, v162                               // 0000000075F8: 0AB5455A
	v_mul_f32_e32 v91, v91, v163                               // 0000000075FC: 0AB7475B
	v_mul_f32_e64 v4, -v92, s6                                 // 000000007600: D1050004 20000D5C
	v_mul_f32_e64 v5, -v93, s6                                 // 000000007608: D1050005 20000D5D
	v_mul_f32_e64 v6, -v94, s6                                 // 000000007610: D1050006 20000D5E
	v_mul_f32_e64 v7, -v95, s6                                 // 000000007618: D1050007 20000D5F
	v_exp_f32_e32 v4, v4                                       // 000000007620: 7E084104
	v_exp_f32_e32 v5, v5                                       // 000000007624: 7E0A4105
	v_exp_f32_e32 v6, v6                                       // 000000007628: 7E0C4106
	v_exp_f32_e32 v7, v7                                       // 00000000762C: 7E0E4107
	v_add_f32_e64 v4, v4, 1.0                                  // 000000007630: D1010004 0001E504
	v_add_f32_e64 v5, v5, 1.0                                  // 000000007638: D1010005 0001E505
	v_add_f32_e64 v6, v6, 1.0                                  // 000000007640: D1010006 0001E506
	v_add_f32_e64 v7, v7, 1.0                                  // 000000007648: D1010007 0001E507
	v_rcp_f32_e32 v4, v4                                       // 000000007650: 7E084504
	v_rcp_f32_e32 v5, v5                                       // 000000007654: 7E0A4505
	v_rcp_f32_e32 v6, v6                                       // 000000007658: 7E0C4506
	v_rcp_f32_e32 v7, v7                                       // 00000000765C: 7E0E4507
	v_mul_f32_e32 v92, v92, v4                                 // 000000007660: 0AB8095C
	v_mul_f32_e32 v93, v93, v5                                 // 000000007664: 0ABA0B5D
	v_mul_f32_e32 v94, v94, v6                                 // 000000007668: 0ABC0D5E
	v_mul_f32_e32 v95, v95, v7                                 // 00000000766C: 0ABE0F5F
	v_mul_f32_e32 v92, v92, v164                               // 000000007670: 0AB9495C
	v_mul_f32_e32 v93, v93, v165                               // 000000007674: 0ABB4B5D
	v_mul_f32_e32 v94, v94, v166                               // 000000007678: 0ABD4D5E
	v_mul_f32_e32 v95, v95, v167                               // 00000000767C: 0ABF4F5F
	v_mul_f32_e64 v4, -v96, s6                                 // 000000007680: D1050004 20000D60
	v_mul_f32_e64 v5, -v97, s6                                 // 000000007688: D1050005 20000D61
	v_mul_f32_e64 v6, -v98, s6                                 // 000000007690: D1050006 20000D62
	v_mul_f32_e64 v7, -v99, s6                                 // 000000007698: D1050007 20000D63
	v_exp_f32_e32 v4, v4                                       // 0000000076A0: 7E084104
	v_exp_f32_e32 v5, v5                                       // 0000000076A4: 7E0A4105
	v_exp_f32_e32 v6, v6                                       // 0000000076A8: 7E0C4106
	v_exp_f32_e32 v7, v7                                       // 0000000076AC: 7E0E4107
	v_add_f32_e64 v4, v4, 1.0                                  // 0000000076B0: D1010004 0001E504
	v_add_f32_e64 v5, v5, 1.0                                  // 0000000076B8: D1010005 0001E505
	v_add_f32_e64 v6, v6, 1.0                                  // 0000000076C0: D1010006 0001E506
	v_add_f32_e64 v7, v7, 1.0                                  // 0000000076C8: D1010007 0001E507
	v_rcp_f32_e32 v4, v4                                       // 0000000076D0: 7E084504
	v_rcp_f32_e32 v5, v5                                       // 0000000076D4: 7E0A4505
	v_rcp_f32_e32 v6, v6                                       // 0000000076D8: 7E0C4506
	v_rcp_f32_e32 v7, v7                                       // 0000000076DC: 7E0E4507
	v_mul_f32_e32 v96, v96, v4                                 // 0000000076E0: 0AC00960
	v_mul_f32_e32 v97, v97, v5                                 // 0000000076E4: 0AC20B61
	v_mul_f32_e32 v98, v98, v6                                 // 0000000076E8: 0AC40D62
	v_mul_f32_e32 v99, v99, v7                                 // 0000000076EC: 0AC60F63
	v_mul_f32_e32 v96, v96, v168                               // 0000000076F0: 0AC15160
	v_mul_f32_e32 v97, v97, v169                               // 0000000076F4: 0AC35361
	v_mul_f32_e32 v98, v98, v170                               // 0000000076F8: 0AC55562
	v_mul_f32_e32 v99, v99, v171                               // 0000000076FC: 0AC75763
	v_mul_f32_e64 v4, -v100, s6                                // 000000007700: D1050004 20000D64
	v_mul_f32_e64 v5, -v101, s6                                // 000000007708: D1050005 20000D65
	v_mul_f32_e64 v6, -v102, s6                                // 000000007710: D1050006 20000D66
	v_mul_f32_e64 v7, -v103, s6                                // 000000007718: D1050007 20000D67
	v_exp_f32_e32 v4, v4                                       // 000000007720: 7E084104
	v_exp_f32_e32 v5, v5                                       // 000000007724: 7E0A4105
	v_exp_f32_e32 v6, v6                                       // 000000007728: 7E0C4106
	v_exp_f32_e32 v7, v7                                       // 00000000772C: 7E0E4107
	v_add_f32_e64 v4, v4, 1.0                                  // 000000007730: D1010004 0001E504
	v_add_f32_e64 v5, v5, 1.0                                  // 000000007738: D1010005 0001E505
	v_add_f32_e64 v6, v6, 1.0                                  // 000000007740: D1010006 0001E506
	v_add_f32_e64 v7, v7, 1.0                                  // 000000007748: D1010007 0001E507
	v_rcp_f32_e32 v4, v4                                       // 000000007750: 7E084504
	v_rcp_f32_e32 v5, v5                                       // 000000007754: 7E0A4505
	v_rcp_f32_e32 v6, v6                                       // 000000007758: 7E0C4506
	v_rcp_f32_e32 v7, v7                                       // 00000000775C: 7E0E4507
	v_mul_f32_e32 v100, v100, v4                               // 000000007760: 0AC80964
	v_mul_f32_e32 v101, v101, v5                               // 000000007764: 0ACA0B65
	v_mul_f32_e32 v102, v102, v6                               // 000000007768: 0ACC0D66
	v_mul_f32_e32 v103, v103, v7                               // 00000000776C: 0ACE0F67
	v_mul_f32_e32 v100, v100, v172                             // 000000007770: 0AC95964
	v_mul_f32_e32 v101, v101, v173                             // 000000007774: 0ACB5B65
	v_mul_f32_e32 v102, v102, v174                             // 000000007778: 0ACD5D66
	v_mul_f32_e32 v103, v103, v175                             // 00000000777C: 0ACF5F67
	v_mul_f32_e64 v4, -v104, s6                                // 000000007780: D1050004 20000D68
	v_mul_f32_e64 v5, -v105, s6                                // 000000007788: D1050005 20000D69
	v_mul_f32_e64 v6, -v106, s6                                // 000000007790: D1050006 20000D6A
	v_mul_f32_e64 v7, -v107, s6                                // 000000007798: D1050007 20000D6B
	v_exp_f32_e32 v4, v4                                       // 0000000077A0: 7E084104
	v_exp_f32_e32 v5, v5                                       // 0000000077A4: 7E0A4105
	v_exp_f32_e32 v6, v6                                       // 0000000077A8: 7E0C4106
	v_exp_f32_e32 v7, v7                                       // 0000000077AC: 7E0E4107
	v_add_f32_e64 v4, v4, 1.0                                  // 0000000077B0: D1010004 0001E504
	v_add_f32_e64 v5, v5, 1.0                                  // 0000000077B8: D1010005 0001E505
	v_add_f32_e64 v6, v6, 1.0                                  // 0000000077C0: D1010006 0001E506
	v_add_f32_e64 v7, v7, 1.0                                  // 0000000077C8: D1010007 0001E507
	v_rcp_f32_e32 v4, v4                                       // 0000000077D0: 7E084504
	v_rcp_f32_e32 v5, v5                                       // 0000000077D4: 7E0A4505
	v_rcp_f32_e32 v6, v6                                       // 0000000077D8: 7E0C4506
	v_rcp_f32_e32 v7, v7                                       // 0000000077DC: 7E0E4507
	v_mul_f32_e32 v104, v104, v4                               // 0000000077E0: 0AD00968
	v_mul_f32_e32 v105, v105, v5                               // 0000000077E4: 0AD20B69
	v_mul_f32_e32 v106, v106, v6                               // 0000000077E8: 0AD40D6A
	v_mul_f32_e32 v107, v107, v7                               // 0000000077EC: 0AD60F6B
	v_mul_f32_e32 v104, v104, v176                             // 0000000077F0: 0AD16168
	v_mul_f32_e32 v105, v105, v177                             // 0000000077F4: 0AD36369
	v_mul_f32_e32 v106, v106, v178                             // 0000000077F8: 0AD5656A
	v_mul_f32_e32 v107, v107, v179                             // 0000000077FC: 0AD7676B
	v_mul_f32_e64 v4, -v108, s6                                // 000000007800: D1050004 20000D6C
	v_mul_f32_e64 v5, -v109, s6                                // 000000007808: D1050005 20000D6D
	v_mul_f32_e64 v6, -v110, s6                                // 000000007810: D1050006 20000D6E
	v_mul_f32_e64 v7, -v111, s6                                // 000000007818: D1050007 20000D6F
	v_exp_f32_e32 v4, v4                                       // 000000007820: 7E084104
	v_exp_f32_e32 v5, v5                                       // 000000007824: 7E0A4105
	v_exp_f32_e32 v6, v6                                       // 000000007828: 7E0C4106
	v_exp_f32_e32 v7, v7                                       // 00000000782C: 7E0E4107
	v_add_f32_e64 v4, v4, 1.0                                  // 000000007830: D1010004 0001E504
	v_add_f32_e64 v5, v5, 1.0                                  // 000000007838: D1010005 0001E505
	v_add_f32_e64 v6, v6, 1.0                                  // 000000007840: D1010006 0001E506
	v_add_f32_e64 v7, v7, 1.0                                  // 000000007848: D1010007 0001E507
	v_rcp_f32_e32 v4, v4                                       // 000000007850: 7E084504
	v_rcp_f32_e32 v5, v5                                       // 000000007854: 7E0A4505
	v_rcp_f32_e32 v6, v6                                       // 000000007858: 7E0C4506
	v_rcp_f32_e32 v7, v7                                       // 00000000785C: 7E0E4507
	v_mul_f32_e32 v108, v108, v4                               // 000000007860: 0AD8096C
	v_mul_f32_e32 v109, v109, v5                               // 000000007864: 0ADA0B6D
	v_mul_f32_e32 v110, v110, v6                               // 000000007868: 0ADC0D6E
	v_mul_f32_e32 v111, v111, v7                               // 00000000786C: 0ADE0F6F
	v_mul_f32_e32 v108, v108, v180                             // 000000007870: 0AD9696C
	v_mul_f32_e32 v109, v109, v181                             // 000000007874: 0ADB6B6D
	v_mul_f32_e32 v110, v110, v182                             // 000000007878: 0ADD6D6E
	v_mul_f32_e32 v111, v111, v183                             // 00000000787C: 0ADF6F6F
	v_mul_f32_e64 v4, -v112, s6                                // 000000007880: D1050004 20000D70
	v_mul_f32_e64 v5, -v113, s6                                // 000000007888: D1050005 20000D71
	v_mul_f32_e64 v6, -v114, s6                                // 000000007890: D1050006 20000D72
	v_mul_f32_e64 v7, -v115, s6                                // 000000007898: D1050007 20000D73
	v_exp_f32_e32 v4, v4                                       // 0000000078A0: 7E084104
	v_exp_f32_e32 v5, v5                                       // 0000000078A4: 7E0A4105
	v_exp_f32_e32 v6, v6                                       // 0000000078A8: 7E0C4106
	v_exp_f32_e32 v7, v7                                       // 0000000078AC: 7E0E4107
	v_add_f32_e64 v4, v4, 1.0                                  // 0000000078B0: D1010004 0001E504
	v_add_f32_e64 v5, v5, 1.0                                  // 0000000078B8: D1010005 0001E505
	v_add_f32_e64 v6, v6, 1.0                                  // 0000000078C0: D1010006 0001E506
	v_add_f32_e64 v7, v7, 1.0                                  // 0000000078C8: D1010007 0001E507
	v_rcp_f32_e32 v4, v4                                       // 0000000078D0: 7E084504
	v_rcp_f32_e32 v5, v5                                       // 0000000078D4: 7E0A4505
	v_rcp_f32_e32 v6, v6                                       // 0000000078D8: 7E0C4506
	v_rcp_f32_e32 v7, v7                                       // 0000000078DC: 7E0E4507
	v_mul_f32_e32 v112, v112, v4                               // 0000000078E0: 0AE00970
	v_mul_f32_e32 v113, v113, v5                               // 0000000078E4: 0AE20B71
	v_mul_f32_e32 v114, v114, v6                               // 0000000078E8: 0AE40D72
	v_mul_f32_e32 v115, v115, v7                               // 0000000078EC: 0AE60F73
	v_mul_f32_e32 v112, v112, v184                             // 0000000078F0: 0AE17170
	v_mul_f32_e32 v113, v113, v185                             // 0000000078F4: 0AE37371
	v_mul_f32_e32 v114, v114, v186                             // 0000000078F8: 0AE57572
	v_mul_f32_e32 v115, v115, v187                             // 0000000078FC: 0AE77773
	v_mul_f32_e64 v4, -v116, s6                                // 000000007900: D1050004 20000D74
	v_mul_f32_e64 v5, -v117, s6                                // 000000007908: D1050005 20000D75
	v_mul_f32_e64 v6, -v118, s6                                // 000000007910: D1050006 20000D76
	v_mul_f32_e64 v7, -v119, s6                                // 000000007918: D1050007 20000D77
	v_exp_f32_e32 v4, v4                                       // 000000007920: 7E084104
	v_exp_f32_e32 v5, v5                                       // 000000007924: 7E0A4105
	v_exp_f32_e32 v6, v6                                       // 000000007928: 7E0C4106
	v_exp_f32_e32 v7, v7                                       // 00000000792C: 7E0E4107
	v_add_f32_e64 v4, v4, 1.0                                  // 000000007930: D1010004 0001E504
	v_add_f32_e64 v5, v5, 1.0                                  // 000000007938: D1010005 0001E505
	v_add_f32_e64 v6, v6, 1.0                                  // 000000007940: D1010006 0001E506
	v_add_f32_e64 v7, v7, 1.0                                  // 000000007948: D1010007 0001E507
	v_rcp_f32_e32 v4, v4                                       // 000000007950: 7E084504
	v_rcp_f32_e32 v5, v5                                       // 000000007954: 7E0A4505
	v_rcp_f32_e32 v6, v6                                       // 000000007958: 7E0C4506
	v_rcp_f32_e32 v7, v7                                       // 00000000795C: 7E0E4507
	v_mul_f32_e32 v116, v116, v4                               // 000000007960: 0AE80974
	v_mul_f32_e32 v117, v117, v5                               // 000000007964: 0AEA0B75
	v_mul_f32_e32 v118, v118, v6                               // 000000007968: 0AEC0D76
	v_mul_f32_e32 v119, v119, v7                               // 00000000796C: 0AEE0F77
	v_mul_f32_e32 v116, v116, v188                             // 000000007970: 0AE97974
	v_mul_f32_e32 v117, v117, v189                             // 000000007974: 0AEB7B75
	v_mul_f32_e32 v118, v118, v190                             // 000000007978: 0AED7D76
	v_mul_f32_e32 v119, v119, v191                             // 00000000797C: 0AEF7F77
	v_mul_f32_e64 v4, -v120, s6                                // 000000007980: D1050004 20000D78
	v_mul_f32_e64 v5, -v121, s6                                // 000000007988: D1050005 20000D79
	v_mul_f32_e64 v6, -v122, s6                                // 000000007990: D1050006 20000D7A
	v_mul_f32_e64 v7, -v123, s6                                // 000000007998: D1050007 20000D7B
	v_exp_f32_e32 v4, v4                                       // 0000000079A0: 7E084104
	v_exp_f32_e32 v5, v5                                       // 0000000079A4: 7E0A4105
	v_exp_f32_e32 v6, v6                                       // 0000000079A8: 7E0C4106
	v_exp_f32_e32 v7, v7                                       // 0000000079AC: 7E0E4107
	v_add_f32_e64 v4, v4, 1.0                                  // 0000000079B0: D1010004 0001E504
	v_add_f32_e64 v5, v5, 1.0                                  // 0000000079B8: D1010005 0001E505
	v_add_f32_e64 v6, v6, 1.0                                  // 0000000079C0: D1010006 0001E506
	v_add_f32_e64 v7, v7, 1.0                                  // 0000000079C8: D1010007 0001E507
	v_rcp_f32_e32 v4, v4                                       // 0000000079D0: 7E084504
	v_rcp_f32_e32 v5, v5                                       // 0000000079D4: 7E0A4505
	v_rcp_f32_e32 v6, v6                                       // 0000000079D8: 7E0C4506
	v_rcp_f32_e32 v7, v7                                       // 0000000079DC: 7E0E4507
	v_mul_f32_e32 v120, v120, v4                               // 0000000079E0: 0AF00978
	v_mul_f32_e32 v121, v121, v5                               // 0000000079E4: 0AF20B79
	v_mul_f32_e32 v122, v122, v6                               // 0000000079E8: 0AF40D7A
	v_mul_f32_e32 v123, v123, v7                               // 0000000079EC: 0AF60F7B
	v_mul_f32_e32 v120, v120, v192                             // 0000000079F0: 0AF18178
	v_mul_f32_e32 v121, v121, v193                             // 0000000079F4: 0AF38379
	v_mul_f32_e32 v122, v122, v194                             // 0000000079F8: 0AF5857A
	v_mul_f32_e32 v123, v123, v195                             // 0000000079FC: 0AF7877B
	v_mul_f32_e64 v4, -v124, s6                                // 000000007A00: D1050004 20000D7C
	v_mul_f32_e64 v5, -v125, s6                                // 000000007A08: D1050005 20000D7D
	v_mul_f32_e64 v6, -v126, s6                                // 000000007A10: D1050006 20000D7E
	v_mul_f32_e64 v7, -v127, s6                                // 000000007A18: D1050007 20000D7F
	v_exp_f32_e32 v4, v4                                       // 000000007A20: 7E084104
	v_exp_f32_e32 v5, v5                                       // 000000007A24: 7E0A4105
	v_exp_f32_e32 v6, v6                                       // 000000007A28: 7E0C4106
	v_exp_f32_e32 v7, v7                                       // 000000007A2C: 7E0E4107
	v_add_f32_e64 v4, v4, 1.0                                  // 000000007A30: D1010004 0001E504
	v_add_f32_e64 v5, v5, 1.0                                  // 000000007A38: D1010005 0001E505
	v_add_f32_e64 v6, v6, 1.0                                  // 000000007A40: D1010006 0001E506
	v_add_f32_e64 v7, v7, 1.0                                  // 000000007A48: D1010007 0001E507
	v_rcp_f32_e32 v4, v4                                       // 000000007A50: 7E084504
	v_rcp_f32_e32 v5, v5                                       // 000000007A54: 7E0A4505
	v_rcp_f32_e32 v6, v6                                       // 000000007A58: 7E0C4506
	v_rcp_f32_e32 v7, v7                                       // 000000007A5C: 7E0E4507
	v_mul_f32_e32 v124, v124, v4                               // 000000007A60: 0AF8097C
	v_mul_f32_e32 v125, v125, v5                               // 000000007A64: 0AFA0B7D
	v_mul_f32_e32 v126, v126, v6                               // 000000007A68: 0AFC0D7E
	v_mul_f32_e32 v127, v127, v7                               // 000000007A6C: 0AFE0F7F
	v_mul_f32_e32 v124, v124, v196                             // 000000007A70: 0AF9897C
	v_mul_f32_e32 v125, v125, v197                             // 000000007A74: 0AFB8B7D
	v_mul_f32_e32 v126, v126, v198                             // 000000007A78: 0AFD8D7E
	v_mul_f32_e32 v127, v127, v199                             // 000000007A7C: 0AFF8F7F
	v_mul_f32_e64 v4, -v128, s6                                // 000000007A80: D1050004 20000D80
	v_mul_f32_e64 v5, -v129, s6                                // 000000007A88: D1050005 20000D81
	v_mul_f32_e64 v6, -v130, s6                                // 000000007A90: D1050006 20000D82
	v_mul_f32_e64 v7, -v131, s6                                // 000000007A98: D1050007 20000D83
	v_exp_f32_e32 v4, v4                                       // 000000007AA0: 7E084104
	v_exp_f32_e32 v5, v5                                       // 000000007AA4: 7E0A4105
	v_exp_f32_e32 v6, v6                                       // 000000007AA8: 7E0C4106
	v_exp_f32_e32 v7, v7                                       // 000000007AAC: 7E0E4107
	v_add_f32_e64 v4, v4, 1.0                                  // 000000007AB0: D1010004 0001E504
	v_add_f32_e64 v5, v5, 1.0                                  // 000000007AB8: D1010005 0001E505
	v_add_f32_e64 v6, v6, 1.0                                  // 000000007AC0: D1010006 0001E506
	v_add_f32_e64 v7, v7, 1.0                                  // 000000007AC8: D1010007 0001E507
	v_rcp_f32_e32 v4, v4                                       // 000000007AD0: 7E084504
	v_rcp_f32_e32 v5, v5                                       // 000000007AD4: 7E0A4505
	v_rcp_f32_e32 v6, v6                                       // 000000007AD8: 7E0C4506
	v_rcp_f32_e32 v7, v7                                       // 000000007ADC: 7E0E4507
	v_mul_f32_e32 v128, v128, v4                               // 000000007AE0: 0B000980
	v_mul_f32_e32 v129, v129, v5                               // 000000007AE4: 0B020B81
	v_mul_f32_e32 v130, v130, v6                               // 000000007AE8: 0B040D82
	v_mul_f32_e32 v131, v131, v7                               // 000000007AEC: 0B060F83
	v_mul_f32_e32 v128, v128, v200                             // 000000007AF0: 0B019180
	v_mul_f32_e32 v129, v129, v201                             // 000000007AF4: 0B039381
	v_mul_f32_e32 v130, v130, v202                             // 000000007AF8: 0B059582
	v_mul_f32_e32 v131, v131, v203                             // 000000007AFC: 0B079783
	v_mul_f32_e64 v4, -v132, s6                                // 000000007B00: D1050004 20000D84
	v_mul_f32_e64 v5, -v133, s6                                // 000000007B08: D1050005 20000D85
	v_mul_f32_e64 v6, -v134, s6                                // 000000007B10: D1050006 20000D86
	v_mul_f32_e64 v7, -v135, s6                                // 000000007B18: D1050007 20000D87
	v_exp_f32_e32 v4, v4                                       // 000000007B20: 7E084104
	v_exp_f32_e32 v5, v5                                       // 000000007B24: 7E0A4105
	v_exp_f32_e32 v6, v6                                       // 000000007B28: 7E0C4106
	v_exp_f32_e32 v7, v7                                       // 000000007B2C: 7E0E4107
	v_add_f32_e64 v4, v4, 1.0                                  // 000000007B30: D1010004 0001E504
	v_add_f32_e64 v5, v5, 1.0                                  // 000000007B38: D1010005 0001E505
	v_add_f32_e64 v6, v6, 1.0                                  // 000000007B40: D1010006 0001E506
	v_add_f32_e64 v7, v7, 1.0                                  // 000000007B48: D1010007 0001E507
	v_rcp_f32_e32 v4, v4                                       // 000000007B50: 7E084504
	v_rcp_f32_e32 v5, v5                                       // 000000007B54: 7E0A4505
	v_rcp_f32_e32 v6, v6                                       // 000000007B58: 7E0C4506
	v_rcp_f32_e32 v7, v7                                       // 000000007B5C: 7E0E4507
	v_mul_f32_e32 v132, v132, v4                               // 000000007B60: 0B080984
	v_mul_f32_e32 v133, v133, v5                               // 000000007B64: 0B0A0B85
	v_mul_f32_e32 v134, v134, v6                               // 000000007B68: 0B0C0D86
	v_mul_f32_e32 v135, v135, v7                               // 000000007B6C: 0B0E0F87
	v_mul_f32_e32 v132, v132, v204                             // 000000007B70: 0B099984
	v_mul_f32_e32 v133, v133, v205                             // 000000007B74: 0B0B9B85
	v_mul_f32_e32 v134, v134, v206                             // 000000007B78: 0B0D9D86
	v_mul_f32_e32 v135, v135, v207                             // 000000007B7C: 0B0F9F87
	v_mul_f32_e64 v4, -v136, s6                                // 000000007B80: D1050004 20000D88
	v_mul_f32_e64 v5, -v137, s6                                // 000000007B88: D1050005 20000D89
	v_mul_f32_e64 v6, -v138, s6                                // 000000007B90: D1050006 20000D8A
	v_mul_f32_e64 v7, -v139, s6                                // 000000007B98: D1050007 20000D8B
	v_exp_f32_e32 v4, v4                                       // 000000007BA0: 7E084104
	v_exp_f32_e32 v5, v5                                       // 000000007BA4: 7E0A4105
	v_exp_f32_e32 v6, v6                                       // 000000007BA8: 7E0C4106
	v_exp_f32_e32 v7, v7                                       // 000000007BAC: 7E0E4107
	v_add_f32_e64 v4, v4, 1.0                                  // 000000007BB0: D1010004 0001E504
	v_add_f32_e64 v5, v5, 1.0                                  // 000000007BB8: D1010005 0001E505
	v_add_f32_e64 v6, v6, 1.0                                  // 000000007BC0: D1010006 0001E506
	v_add_f32_e64 v7, v7, 1.0                                  // 000000007BC8: D1010007 0001E507
	v_rcp_f32_e32 v4, v4                                       // 000000007BD0: 7E084504
	v_rcp_f32_e32 v5, v5                                       // 000000007BD4: 7E0A4505
	v_rcp_f32_e32 v6, v6                                       // 000000007BD8: 7E0C4506
	v_rcp_f32_e32 v7, v7                                       // 000000007BDC: 7E0E4507
	v_mul_f32_e32 v136, v136, v4                               // 000000007BE0: 0B100988
	v_mul_f32_e32 v137, v137, v5                               // 000000007BE4: 0B120B89
	v_mul_f32_e32 v138, v138, v6                               // 000000007BE8: 0B140D8A
	v_mul_f32_e32 v139, v139, v7                               // 000000007BEC: 0B160F8B
	v_mul_f32_e32 v136, v136, v208                             // 000000007BF0: 0B11A188
	v_mul_f32_e32 v137, v137, v209                             // 000000007BF4: 0B13A389
	v_mul_f32_e32 v138, v138, v210                             // 000000007BF8: 0B15A58A
	v_mul_f32_e32 v139, v139, v211                             // 000000007BFC: 0B17A78B
	v_mul_f32_e64 v4, -v140, s6                                // 000000007C00: D1050004 20000D8C
	v_mul_f32_e64 v5, -v141, s6                                // 000000007C08: D1050005 20000D8D
	v_mul_f32_e64 v6, -v142, s6                                // 000000007C10: D1050006 20000D8E
	v_mul_f32_e64 v7, -v143, s6                                // 000000007C18: D1050007 20000D8F
	v_exp_f32_e32 v4, v4                                       // 000000007C20: 7E084104
	v_exp_f32_e32 v5, v5                                       // 000000007C24: 7E0A4105
	v_exp_f32_e32 v6, v6                                       // 000000007C28: 7E0C4106
	v_exp_f32_e32 v7, v7                                       // 000000007C2C: 7E0E4107
	v_add_f32_e64 v4, v4, 1.0                                  // 000000007C30: D1010004 0001E504
	v_add_f32_e64 v5, v5, 1.0                                  // 000000007C38: D1010005 0001E505
	v_add_f32_e64 v6, v6, 1.0                                  // 000000007C40: D1010006 0001E506
	v_add_f32_e64 v7, v7, 1.0                                  // 000000007C48: D1010007 0001E507
	v_rcp_f32_e32 v4, v4                                       // 000000007C50: 7E084504
	v_rcp_f32_e32 v5, v5                                       // 000000007C54: 7E0A4505
	v_rcp_f32_e32 v6, v6                                       // 000000007C58: 7E0C4506
	v_rcp_f32_e32 v7, v7                                       // 000000007C5C: 7E0E4507
	v_mul_f32_e32 v140, v140, v4                               // 000000007C60: 0B18098C
	v_mul_f32_e32 v141, v141, v5                               // 000000007C64: 0B1A0B8D
	v_mul_f32_e32 v142, v142, v6                               // 000000007C68: 0B1C0D8E
	v_mul_f32_e32 v143, v143, v7                               // 000000007C6C: 0B1E0F8F
	v_mul_f32_e32 v140, v140, v212                             // 000000007C70: 0B19A98C
	v_mul_f32_e32 v141, v141, v213                             // 000000007C74: 0B1BAB8D
	v_mul_f32_e32 v142, v142, v214                             // 000000007C78: 0B1DAD8E
	v_mul_f32_e32 v143, v143, v215                             // 000000007C7C: 0B1FAF8F
	v_mul_f32_e64 v4, -v144, s6                                // 000000007C80: D1050004 20000D90
	v_mul_f32_e64 v5, -v145, s6                                // 000000007C88: D1050005 20000D91
	v_mul_f32_e64 v6, -v146, s6                                // 000000007C90: D1050006 20000D92
	v_mul_f32_e64 v7, -v147, s6                                // 000000007C98: D1050007 20000D93
	v_exp_f32_e32 v4, v4                                       // 000000007CA0: 7E084104
	v_exp_f32_e32 v5, v5                                       // 000000007CA4: 7E0A4105
	v_exp_f32_e32 v6, v6                                       // 000000007CA8: 7E0C4106
	v_exp_f32_e32 v7, v7                                       // 000000007CAC: 7E0E4107
	v_add_f32_e64 v4, v4, 1.0                                  // 000000007CB0: D1010004 0001E504
	v_add_f32_e64 v5, v5, 1.0                                  // 000000007CB8: D1010005 0001E505
	v_add_f32_e64 v6, v6, 1.0                                  // 000000007CC0: D1010006 0001E506
	v_add_f32_e64 v7, v7, 1.0                                  // 000000007CC8: D1010007 0001E507
	v_rcp_f32_e32 v4, v4                                       // 000000007CD0: 7E084504
	v_rcp_f32_e32 v5, v5                                       // 000000007CD4: 7E0A4505
	v_rcp_f32_e32 v6, v6                                       // 000000007CD8: 7E0C4506
	v_rcp_f32_e32 v7, v7                                       // 000000007CDC: 7E0E4507
	v_mul_f32_e32 v144, v144, v4                               // 000000007CE0: 0B200990
	v_mul_f32_e32 v145, v145, v5                               // 000000007CE4: 0B220B91
	v_mul_f32_e32 v146, v146, v6                               // 000000007CE8: 0B240D92
	v_mul_f32_e32 v147, v147, v7                               // 000000007CEC: 0B260F93
	v_mul_f32_e32 v144, v144, v216                             // 000000007CF0: 0B21B190
	v_mul_f32_e32 v145, v145, v217                             // 000000007CF4: 0B23B391
	v_mul_f32_e32 v146, v146, v218                             // 000000007CF8: 0B25B592
	v_mul_f32_e32 v147, v147, v219                             // 000000007CFC: 0B27B793
	v_mul_f32_e64 v4, -v148, s6                                // 000000007D00: D1050004 20000D94
	v_mul_f32_e64 v5, -v149, s6                                // 000000007D08: D1050005 20000D95
	v_mul_f32_e64 v6, -v150, s6                                // 000000007D10: D1050006 20000D96
	v_mul_f32_e64 v7, -v151, s6                                // 000000007D18: D1050007 20000D97
	v_exp_f32_e32 v4, v4                                       // 000000007D20: 7E084104
	v_exp_f32_e32 v5, v5                                       // 000000007D24: 7E0A4105
	v_exp_f32_e32 v6, v6                                       // 000000007D28: 7E0C4106
	v_exp_f32_e32 v7, v7                                       // 000000007D2C: 7E0E4107
	v_add_f32_e64 v4, v4, 1.0                                  // 000000007D30: D1010004 0001E504
	v_add_f32_e64 v5, v5, 1.0                                  // 000000007D38: D1010005 0001E505
	v_add_f32_e64 v6, v6, 1.0                                  // 000000007D40: D1010006 0001E506
	v_add_f32_e64 v7, v7, 1.0                                  // 000000007D48: D1010007 0001E507
	v_rcp_f32_e32 v4, v4                                       // 000000007D50: 7E084504
	v_rcp_f32_e32 v5, v5                                       // 000000007D54: 7E0A4505
	v_rcp_f32_e32 v6, v6                                       // 000000007D58: 7E0C4506
	v_rcp_f32_e32 v7, v7                                       // 000000007D5C: 7E0E4507
	v_mul_f32_e32 v148, v148, v4                               // 000000007D60: 0B280994
	v_mul_f32_e32 v149, v149, v5                               // 000000007D64: 0B2A0B95
	v_mul_f32_e32 v150, v150, v6                               // 000000007D68: 0B2C0D96
	v_mul_f32_e32 v151, v151, v7                               // 000000007D6C: 0B2E0F97
	v_mul_f32_e32 v148, v148, v220                             // 000000007D70: 0B29B994
	v_mul_f32_e32 v149, v149, v221                             // 000000007D74: 0B2BBB95
	v_mul_f32_e32 v150, v150, v222                             // 000000007D78: 0B2DBD96
	v_mul_f32_e32 v151, v151, v223                             // 000000007D7C: 0B2FBF97
	v_mul_f32_e64 v4, -v152, s6                                // 000000007D80: D1050004 20000D98
	v_mul_f32_e64 v5, -v153, s6                                // 000000007D88: D1050005 20000D99
	v_mul_f32_e64 v6, -v154, s6                                // 000000007D90: D1050006 20000D9A
	v_mul_f32_e64 v7, -v155, s6                                // 000000007D98: D1050007 20000D9B
	v_exp_f32_e32 v4, v4                                       // 000000007DA0: 7E084104
	v_exp_f32_e32 v5, v5                                       // 000000007DA4: 7E0A4105
	v_exp_f32_e32 v6, v6                                       // 000000007DA8: 7E0C4106
	v_exp_f32_e32 v7, v7                                       // 000000007DAC: 7E0E4107
	v_add_f32_e64 v4, v4, 1.0                                  // 000000007DB0: D1010004 0001E504
	v_add_f32_e64 v5, v5, 1.0                                  // 000000007DB8: D1010005 0001E505
	v_add_f32_e64 v6, v6, 1.0                                  // 000000007DC0: D1010006 0001E506
	v_add_f32_e64 v7, v7, 1.0                                  // 000000007DC8: D1010007 0001E507
	v_rcp_f32_e32 v4, v4                                       // 000000007DD0: 7E084504
	v_rcp_f32_e32 v5, v5                                       // 000000007DD4: 7E0A4505
	v_rcp_f32_e32 v6, v6                                       // 000000007DD8: 7E0C4506
	v_rcp_f32_e32 v7, v7                                       // 000000007DDC: 7E0E4507
	v_mul_f32_e32 v152, v152, v4                               // 000000007DE0: 0B300998
	v_mul_f32_e32 v153, v153, v5                               // 000000007DE4: 0B320B99
	v_mul_f32_e32 v154, v154, v6                               // 000000007DE8: 0B340D9A
	v_mul_f32_e32 v155, v155, v7                               // 000000007DEC: 0B360F9B
	v_mul_f32_e32 v152, v152, v224                             // 000000007DF0: 0B31C198
	v_mul_f32_e32 v153, v153, v225                             // 000000007DF4: 0B33C399
	v_mul_f32_e32 v154, v154, v226                             // 000000007DF8: 0B35C59A
	v_mul_f32_e32 v155, v155, v227                             // 000000007DFC: 0B37C79B
	v_mul_f32_e64 v4, -v156, s6                                // 000000007E00: D1050004 20000D9C
	v_mul_f32_e64 v5, -v157, s6                                // 000000007E08: D1050005 20000D9D
	v_mul_f32_e64 v6, -v158, s6                                // 000000007E10: D1050006 20000D9E
	v_mul_f32_e64 v7, -v159, s6                                // 000000007E18: D1050007 20000D9F
	v_exp_f32_e32 v4, v4                                       // 000000007E20: 7E084104
	v_exp_f32_e32 v5, v5                                       // 000000007E24: 7E0A4105
	v_exp_f32_e32 v6, v6                                       // 000000007E28: 7E0C4106
	v_exp_f32_e32 v7, v7                                       // 000000007E2C: 7E0E4107
	v_add_f32_e64 v4, v4, 1.0                                  // 000000007E30: D1010004 0001E504
	v_add_f32_e64 v5, v5, 1.0                                  // 000000007E38: D1010005 0001E505
	v_add_f32_e64 v6, v6, 1.0                                  // 000000007E40: D1010006 0001E506
	v_add_f32_e64 v7, v7, 1.0                                  // 000000007E48: D1010007 0001E507
	v_rcp_f32_e32 v4, v4                                       // 000000007E50: 7E084504
	v_rcp_f32_e32 v5, v5                                       // 000000007E54: 7E0A4505
	v_rcp_f32_e32 v6, v6                                       // 000000007E58: 7E0C4506
	v_rcp_f32_e32 v7, v7                                       // 000000007E5C: 7E0E4507
	v_mul_f32_e32 v156, v156, v4                               // 000000007E60: 0B38099C
	v_mul_f32_e32 v157, v157, v5                               // 000000007E64: 0B3A0B9D
	v_mul_f32_e32 v158, v158, v6                               // 000000007E68: 0B3C0D9E
	v_mul_f32_e32 v159, v159, v7                               // 000000007E6C: 0B3E0F9F
	v_mul_f32_e32 v156, v156, v228                             // 000000007E70: 0B39C99C
	v_mul_f32_e32 v157, v157, v229                             // 000000007E74: 0B3BCB9D
	v_mul_f32_e32 v158, v158, v230                             // 000000007E78: 0B3DCD9E
	v_mul_f32_e32 v159, v159, v231                             // 000000007E7C: 0B3FCF9F

0000000000007e80 <label_1520>:
	v_cmp_u_f32_e64 s[46:47], v88, v88                         // 000000007E80: D048002E 0002B158
	v_add3_u32 v16, v88, v19, 1                                // 000000007E88: D1FF0010 02062758
	v_cndmask_b32_e64 v4, v16, v18, s[46:47]                   // 000000007E90: D1000004 00BA2510
	v_cmp_u_f32_e64 s[46:47], v89, v89                         // 000000007E98: D048002E 0002B359
	v_add3_u32 v16, v89, v19, 1                                // 000000007EA0: D1FF0010 02062759
	v_cndmask_b32_e64 v5, v16, v18, s[46:47]                   // 000000007EA8: D1000005 00BA2510
	v_perm_b32 v88, v5, v4, s52                                // 000000007EB0: D1ED0058 00D20905
	v_cmp_u_f32_e64 s[46:47], v90, v90                         // 000000007EB8: D048002E 0002B55A
	v_add3_u32 v16, v90, v19, 1                                // 000000007EC0: D1FF0010 0206275A
	v_cndmask_b32_e64 v4, v16, v18, s[46:47]                   // 000000007EC8: D1000004 00BA2510
	v_cmp_u_f32_e64 s[46:47], v91, v91                         // 000000007ED0: D048002E 0002B75B
	v_add3_u32 v16, v91, v19, 1                                // 000000007ED8: D1FF0010 0206275B
	v_cndmask_b32_e64 v5, v16, v18, s[46:47]                   // 000000007EE0: D1000005 00BA2510
	v_perm_b32 v89, v5, v4, s52                                // 000000007EE8: D1ED0059 00D20905
	v_cmp_u_f32_e64 s[46:47], v92, v92                         // 000000007EF0: D048002E 0002B95C
	v_add3_u32 v16, v92, v19, 1                                // 000000007EF8: D1FF0010 0206275C
	v_cndmask_b32_e64 v4, v16, v18, s[46:47]                   // 000000007F00: D1000004 00BA2510
	v_cmp_u_f32_e64 s[46:47], v93, v93                         // 000000007F08: D048002E 0002BB5D
	v_add3_u32 v16, v93, v19, 1                                // 000000007F10: D1FF0010 0206275D
	v_cndmask_b32_e64 v5, v16, v18, s[46:47]                   // 000000007F18: D1000005 00BA2510
	v_perm_b32 v90, v5, v4, s52                                // 000000007F20: D1ED005A 00D20905
	v_cmp_u_f32_e64 s[46:47], v94, v94                         // 000000007F28: D048002E 0002BD5E
	v_add3_u32 v16, v94, v19, 1                                // 000000007F30: D1FF0010 0206275E
	v_cndmask_b32_e64 v4, v16, v18, s[46:47]                   // 000000007F38: D1000004 00BA2510
	v_cmp_u_f32_e64 s[46:47], v95, v95                         // 000000007F40: D048002E 0002BF5F
	v_add3_u32 v16, v95, v19, 1                                // 000000007F48: D1FF0010 0206275F
	v_cndmask_b32_e64 v5, v16, v18, s[46:47]                   // 000000007F50: D1000005 00BA2510
	v_perm_b32 v91, v5, v4, s52                                // 000000007F58: D1ED005B 00D20905
	v_cmp_u_f32_e64 s[46:47], v96, v96                         // 000000007F60: D048002E 0002C160
	v_add3_u32 v16, v96, v19, 1                                // 000000007F68: D1FF0010 02062760
	v_cndmask_b32_e64 v4, v16, v18, s[46:47]                   // 000000007F70: D1000004 00BA2510
	v_cmp_u_f32_e64 s[46:47], v97, v97                         // 000000007F78: D048002E 0002C361
	v_add3_u32 v16, v97, v19, 1                                // 000000007F80: D1FF0010 02062761
	v_cndmask_b32_e64 v5, v16, v18, s[46:47]                   // 000000007F88: D1000005 00BA2510
	v_perm_b32 v92, v5, v4, s52                                // 000000007F90: D1ED005C 00D20905
	v_cmp_u_f32_e64 s[46:47], v98, v98                         // 000000007F98: D048002E 0002C562
	v_add3_u32 v16, v98, v19, 1                                // 000000007FA0: D1FF0010 02062762
	v_cndmask_b32_e64 v4, v16, v18, s[46:47]                   // 000000007FA8: D1000004 00BA2510
	v_cmp_u_f32_e64 s[46:47], v99, v99                         // 000000007FB0: D048002E 0002C763
	v_add3_u32 v16, v99, v19, 1                                // 000000007FB8: D1FF0010 02062763
	v_cndmask_b32_e64 v5, v16, v18, s[46:47]                   // 000000007FC0: D1000005 00BA2510
	v_perm_b32 v93, v5, v4, s52                                // 000000007FC8: D1ED005D 00D20905
	v_cmp_u_f32_e64 s[46:47], v100, v100                       // 000000007FD0: D048002E 0002C964
	v_add3_u32 v16, v100, v19, 1                               // 000000007FD8: D1FF0010 02062764
	v_cndmask_b32_e64 v4, v16, v18, s[46:47]                   // 000000007FE0: D1000004 00BA2510
	v_cmp_u_f32_e64 s[46:47], v101, v101                       // 000000007FE8: D048002E 0002CB65
	v_add3_u32 v16, v101, v19, 1                               // 000000007FF0: D1FF0010 02062765
	v_cndmask_b32_e64 v5, v16, v18, s[46:47]                   // 000000007FF8: D1000005 00BA2510
	v_perm_b32 v94, v5, v4, s52                                // 000000008000: D1ED005E 00D20905
	v_cmp_u_f32_e64 s[46:47], v102, v102                       // 000000008008: D048002E 0002CD66
	v_add3_u32 v16, v102, v19, 1                               // 000000008010: D1FF0010 02062766
	v_cndmask_b32_e64 v4, v16, v18, s[46:47]                   // 000000008018: D1000004 00BA2510
	v_cmp_u_f32_e64 s[46:47], v103, v103                       // 000000008020: D048002E 0002CF67
	v_add3_u32 v16, v103, v19, 1                               // 000000008028: D1FF0010 02062767
	v_cndmask_b32_e64 v5, v16, v18, s[46:47]                   // 000000008030: D1000005 00BA2510
	v_perm_b32 v95, v5, v4, s52                                // 000000008038: D1ED005F 00D20905
	v_cmp_u_f32_e64 s[46:47], v104, v104                       // 000000008040: D048002E 0002D168
	v_add3_u32 v16, v104, v19, 1                               // 000000008048: D1FF0010 02062768
	v_cndmask_b32_e64 v4, v16, v18, s[46:47]                   // 000000008050: D1000004 00BA2510
	v_cmp_u_f32_e64 s[46:47], v105, v105                       // 000000008058: D048002E 0002D369
	v_add3_u32 v16, v105, v19, 1                               // 000000008060: D1FF0010 02062769
	v_cndmask_b32_e64 v5, v16, v18, s[46:47]                   // 000000008068: D1000005 00BA2510
	v_perm_b32 v96, v5, v4, s52                                // 000000008070: D1ED0060 00D20905
	v_cmp_u_f32_e64 s[46:47], v106, v106                       // 000000008078: D048002E 0002D56A
	v_add3_u32 v16, v106, v19, 1                               // 000000008080: D1FF0010 0206276A
	v_cndmask_b32_e64 v4, v16, v18, s[46:47]                   // 000000008088: D1000004 00BA2510
	v_cmp_u_f32_e64 s[46:47], v107, v107                       // 000000008090: D048002E 0002D76B
	v_add3_u32 v16, v107, v19, 1                               // 000000008098: D1FF0010 0206276B
	v_cndmask_b32_e64 v5, v16, v18, s[46:47]                   // 0000000080A0: D1000005 00BA2510
	v_perm_b32 v97, v5, v4, s52                                // 0000000080A8: D1ED0061 00D20905
	v_cmp_u_f32_e64 s[46:47], v108, v108                       // 0000000080B0: D048002E 0002D96C
	v_add3_u32 v16, v108, v19, 1                               // 0000000080B8: D1FF0010 0206276C
	v_cndmask_b32_e64 v4, v16, v18, s[46:47]                   // 0000000080C0: D1000004 00BA2510
	v_cmp_u_f32_e64 s[46:47], v109, v109                       // 0000000080C8: D048002E 0002DB6D
	v_add3_u32 v16, v109, v19, 1                               // 0000000080D0: D1FF0010 0206276D
	v_cndmask_b32_e64 v5, v16, v18, s[46:47]                   // 0000000080D8: D1000005 00BA2510
	v_perm_b32 v98, v5, v4, s52                                // 0000000080E0: D1ED0062 00D20905
	v_cmp_u_f32_e64 s[46:47], v110, v110                       // 0000000080E8: D048002E 0002DD6E
	v_add3_u32 v16, v110, v19, 1                               // 0000000080F0: D1FF0010 0206276E
	v_cndmask_b32_e64 v4, v16, v18, s[46:47]                   // 0000000080F8: D1000004 00BA2510
	v_cmp_u_f32_e64 s[46:47], v111, v111                       // 000000008100: D048002E 0002DF6F
	v_add3_u32 v16, v111, v19, 1                               // 000000008108: D1FF0010 0206276F
	v_cndmask_b32_e64 v5, v16, v18, s[46:47]                   // 000000008110: D1000005 00BA2510
	v_perm_b32 v99, v5, v4, s52                                // 000000008118: D1ED0063 00D20905
	v_cmp_u_f32_e64 s[46:47], v112, v112                       // 000000008120: D048002E 0002E170
	v_add3_u32 v16, v112, v19, 1                               // 000000008128: D1FF0010 02062770
	v_cndmask_b32_e64 v4, v16, v18, s[46:47]                   // 000000008130: D1000004 00BA2510
	v_cmp_u_f32_e64 s[46:47], v113, v113                       // 000000008138: D048002E 0002E371
	v_add3_u32 v16, v113, v19, 1                               // 000000008140: D1FF0010 02062771
	v_cndmask_b32_e64 v5, v16, v18, s[46:47]                   // 000000008148: D1000005 00BA2510
	v_perm_b32 v100, v5, v4, s52                               // 000000008150: D1ED0064 00D20905
	v_cmp_u_f32_e64 s[46:47], v114, v114                       // 000000008158: D048002E 0002E572
	v_add3_u32 v16, v114, v19, 1                               // 000000008160: D1FF0010 02062772
	v_cndmask_b32_e64 v4, v16, v18, s[46:47]                   // 000000008168: D1000004 00BA2510
	v_cmp_u_f32_e64 s[46:47], v115, v115                       // 000000008170: D048002E 0002E773
	v_add3_u32 v16, v115, v19, 1                               // 000000008178: D1FF0010 02062773
	v_cndmask_b32_e64 v5, v16, v18, s[46:47]                   // 000000008180: D1000005 00BA2510
	v_perm_b32 v101, v5, v4, s52                               // 000000008188: D1ED0065 00D20905
	v_cmp_u_f32_e64 s[46:47], v116, v116                       // 000000008190: D048002E 0002E974
	v_add3_u32 v16, v116, v19, 1                               // 000000008198: D1FF0010 02062774
	v_cndmask_b32_e64 v4, v16, v18, s[46:47]                   // 0000000081A0: D1000004 00BA2510
	v_cmp_u_f32_e64 s[46:47], v117, v117                       // 0000000081A8: D048002E 0002EB75
	v_add3_u32 v16, v117, v19, 1                               // 0000000081B0: D1FF0010 02062775
	v_cndmask_b32_e64 v5, v16, v18, s[46:47]                   // 0000000081B8: D1000005 00BA2510
	v_perm_b32 v102, v5, v4, s52                               // 0000000081C0: D1ED0066 00D20905
	v_cmp_u_f32_e64 s[46:47], v118, v118                       // 0000000081C8: D048002E 0002ED76
	v_add3_u32 v16, v118, v19, 1                               // 0000000081D0: D1FF0010 02062776
	v_cndmask_b32_e64 v4, v16, v18, s[46:47]                   // 0000000081D8: D1000004 00BA2510
	v_cmp_u_f32_e64 s[46:47], v119, v119                       // 0000000081E0: D048002E 0002EF77
	v_add3_u32 v16, v119, v19, 1                               // 0000000081E8: D1FF0010 02062777
	v_cndmask_b32_e64 v5, v16, v18, s[46:47]                   // 0000000081F0: D1000005 00BA2510
	v_perm_b32 v103, v5, v4, s52                               // 0000000081F8: D1ED0067 00D20905
	v_cmp_u_f32_e64 s[46:47], v120, v120                       // 000000008200: D048002E 0002F178
	v_add3_u32 v16, v120, v19, 1                               // 000000008208: D1FF0010 02062778
	v_cndmask_b32_e64 v4, v16, v18, s[46:47]                   // 000000008210: D1000004 00BA2510
	v_cmp_u_f32_e64 s[46:47], v121, v121                       // 000000008218: D048002E 0002F379
	v_add3_u32 v16, v121, v19, 1                               // 000000008220: D1FF0010 02062779
	v_cndmask_b32_e64 v5, v16, v18, s[46:47]                   // 000000008228: D1000005 00BA2510
	v_perm_b32 v104, v5, v4, s52                               // 000000008230: D1ED0068 00D20905
	v_cmp_u_f32_e64 s[46:47], v122, v122                       // 000000008238: D048002E 0002F57A
	v_add3_u32 v16, v122, v19, 1                               // 000000008240: D1FF0010 0206277A
	v_cndmask_b32_e64 v4, v16, v18, s[46:47]                   // 000000008248: D1000004 00BA2510
	v_cmp_u_f32_e64 s[46:47], v123, v123                       // 000000008250: D048002E 0002F77B
	v_add3_u32 v16, v123, v19, 1                               // 000000008258: D1FF0010 0206277B
	v_cndmask_b32_e64 v5, v16, v18, s[46:47]                   // 000000008260: D1000005 00BA2510
	v_perm_b32 v105, v5, v4, s52                               // 000000008268: D1ED0069 00D20905
	v_cmp_u_f32_e64 s[46:47], v124, v124                       // 000000008270: D048002E 0002F97C
	v_add3_u32 v16, v124, v19, 1                               // 000000008278: D1FF0010 0206277C
	v_cndmask_b32_e64 v4, v16, v18, s[46:47]                   // 000000008280: D1000004 00BA2510
	v_cmp_u_f32_e64 s[46:47], v125, v125                       // 000000008288: D048002E 0002FB7D
	v_add3_u32 v16, v125, v19, 1                               // 000000008290: D1FF0010 0206277D
	v_cndmask_b32_e64 v5, v16, v18, s[46:47]                   // 000000008298: D1000005 00BA2510
	v_perm_b32 v106, v5, v4, s52                               // 0000000082A0: D1ED006A 00D20905
	v_cmp_u_f32_e64 s[46:47], v126, v126                       // 0000000082A8: D048002E 0002FD7E
	v_add3_u32 v16, v126, v19, 1                               // 0000000082B0: D1FF0010 0206277E
	v_cndmask_b32_e64 v4, v16, v18, s[46:47]                   // 0000000082B8: D1000004 00BA2510
	v_cmp_u_f32_e64 s[46:47], v127, v127                       // 0000000082C0: D048002E 0002FF7F
	v_add3_u32 v16, v127, v19, 1                               // 0000000082C8: D1FF0010 0206277F
	v_cndmask_b32_e64 v5, v16, v18, s[46:47]                   // 0000000082D0: D1000005 00BA2510
	v_perm_b32 v107, v5, v4, s52                               // 0000000082D8: D1ED006B 00D20905
	v_cmp_u_f32_e64 s[46:47], v128, v128                       // 0000000082E0: D048002E 00030180
	v_add3_u32 v16, v128, v19, 1                               // 0000000082E8: D1FF0010 02062780
	v_cndmask_b32_e64 v4, v16, v18, s[46:47]                   // 0000000082F0: D1000004 00BA2510
	v_cmp_u_f32_e64 s[46:47], v129, v129                       // 0000000082F8: D048002E 00030381
	v_add3_u32 v16, v129, v19, 1                               // 000000008300: D1FF0010 02062781
	v_cndmask_b32_e64 v5, v16, v18, s[46:47]                   // 000000008308: D1000005 00BA2510
	v_perm_b32 v108, v5, v4, s52                               // 000000008310: D1ED006C 00D20905
	v_cmp_u_f32_e64 s[46:47], v130, v130                       // 000000008318: D048002E 00030582
	v_add3_u32 v16, v130, v19, 1                               // 000000008320: D1FF0010 02062782
	v_cndmask_b32_e64 v4, v16, v18, s[46:47]                   // 000000008328: D1000004 00BA2510
	v_cmp_u_f32_e64 s[46:47], v131, v131                       // 000000008330: D048002E 00030783
	v_add3_u32 v16, v131, v19, 1                               // 000000008338: D1FF0010 02062783
	v_cndmask_b32_e64 v5, v16, v18, s[46:47]                   // 000000008340: D1000005 00BA2510
	v_perm_b32 v109, v5, v4, s52                               // 000000008348: D1ED006D 00D20905
	v_cmp_u_f32_e64 s[46:47], v132, v132                       // 000000008350: D048002E 00030984
	v_add3_u32 v16, v132, v19, 1                               // 000000008358: D1FF0010 02062784
	v_cndmask_b32_e64 v4, v16, v18, s[46:47]                   // 000000008360: D1000004 00BA2510
	v_cmp_u_f32_e64 s[46:47], v133, v133                       // 000000008368: D048002E 00030B85
	v_add3_u32 v16, v133, v19, 1                               // 000000008370: D1FF0010 02062785
	v_cndmask_b32_e64 v5, v16, v18, s[46:47]                   // 000000008378: D1000005 00BA2510
	v_perm_b32 v110, v5, v4, s52                               // 000000008380: D1ED006E 00D20905
	v_cmp_u_f32_e64 s[46:47], v134, v134                       // 000000008388: D048002E 00030D86
	v_add3_u32 v16, v134, v19, 1                               // 000000008390: D1FF0010 02062786
	v_cndmask_b32_e64 v4, v16, v18, s[46:47]                   // 000000008398: D1000004 00BA2510
	v_cmp_u_f32_e64 s[46:47], v135, v135                       // 0000000083A0: D048002E 00030F87
	v_add3_u32 v16, v135, v19, 1                               // 0000000083A8: D1FF0010 02062787
	v_cndmask_b32_e64 v5, v16, v18, s[46:47]                   // 0000000083B0: D1000005 00BA2510
	v_perm_b32 v111, v5, v4, s52                               // 0000000083B8: D1ED006F 00D20905
	v_cmp_u_f32_e64 s[46:47], v136, v136                       // 0000000083C0: D048002E 00031188
	v_add3_u32 v16, v136, v19, 1                               // 0000000083C8: D1FF0010 02062788
	v_cndmask_b32_e64 v4, v16, v18, s[46:47]                   // 0000000083D0: D1000004 00BA2510
	v_cmp_u_f32_e64 s[46:47], v137, v137                       // 0000000083D8: D048002E 00031389
	v_add3_u32 v16, v137, v19, 1                               // 0000000083E0: D1FF0010 02062789
	v_cndmask_b32_e64 v5, v16, v18, s[46:47]                   // 0000000083E8: D1000005 00BA2510
	v_perm_b32 v112, v5, v4, s52                               // 0000000083F0: D1ED0070 00D20905
	v_cmp_u_f32_e64 s[46:47], v138, v138                       // 0000000083F8: D048002E 0003158A
	v_add3_u32 v16, v138, v19, 1                               // 000000008400: D1FF0010 0206278A
	v_cndmask_b32_e64 v4, v16, v18, s[46:47]                   // 000000008408: D1000004 00BA2510
	v_cmp_u_f32_e64 s[46:47], v139, v139                       // 000000008410: D048002E 0003178B
	v_add3_u32 v16, v139, v19, 1                               // 000000008418: D1FF0010 0206278B
	v_cndmask_b32_e64 v5, v16, v18, s[46:47]                   // 000000008420: D1000005 00BA2510
	v_perm_b32 v113, v5, v4, s52                               // 000000008428: D1ED0071 00D20905
	v_cmp_u_f32_e64 s[46:47], v140, v140                       // 000000008430: D048002E 0003198C
	v_add3_u32 v16, v140, v19, 1                               // 000000008438: D1FF0010 0206278C
	v_cndmask_b32_e64 v4, v16, v18, s[46:47]                   // 000000008440: D1000004 00BA2510
	v_cmp_u_f32_e64 s[46:47], v141, v141                       // 000000008448: D048002E 00031B8D
	v_add3_u32 v16, v141, v19, 1                               // 000000008450: D1FF0010 0206278D
	v_cndmask_b32_e64 v5, v16, v18, s[46:47]                   // 000000008458: D1000005 00BA2510
	v_perm_b32 v114, v5, v4, s52                               // 000000008460: D1ED0072 00D20905
	v_cmp_u_f32_e64 s[46:47], v142, v142                       // 000000008468: D048002E 00031D8E
	v_add3_u32 v16, v142, v19, 1                               // 000000008470: D1FF0010 0206278E
	v_cndmask_b32_e64 v4, v16, v18, s[46:47]                   // 000000008478: D1000004 00BA2510
	v_cmp_u_f32_e64 s[46:47], v143, v143                       // 000000008480: D048002E 00031F8F
	v_add3_u32 v16, v143, v19, 1                               // 000000008488: D1FF0010 0206278F
	v_cndmask_b32_e64 v5, v16, v18, s[46:47]                   // 000000008490: D1000005 00BA2510
	v_perm_b32 v115, v5, v4, s52                               // 000000008498: D1ED0073 00D20905
	v_cmp_u_f32_e64 s[46:47], v144, v144                       // 0000000084A0: D048002E 00032190
	v_add3_u32 v16, v144, v19, 1                               // 0000000084A8: D1FF0010 02062790
	v_cndmask_b32_e64 v4, v16, v18, s[46:47]                   // 0000000084B0: D1000004 00BA2510
	v_cmp_u_f32_e64 s[46:47], v145, v145                       // 0000000084B8: D048002E 00032391
	v_add3_u32 v16, v145, v19, 1                               // 0000000084C0: D1FF0010 02062791
	v_cndmask_b32_e64 v5, v16, v18, s[46:47]                   // 0000000084C8: D1000005 00BA2510
	v_perm_b32 v116, v5, v4, s52                               // 0000000084D0: D1ED0074 00D20905
	v_cmp_u_f32_e64 s[46:47], v146, v146                       // 0000000084D8: D048002E 00032592
	v_add3_u32 v16, v146, v19, 1                               // 0000000084E0: D1FF0010 02062792
	v_cndmask_b32_e64 v4, v16, v18, s[46:47]                   // 0000000084E8: D1000004 00BA2510
	v_cmp_u_f32_e64 s[46:47], v147, v147                       // 0000000084F0: D048002E 00032793
	v_add3_u32 v16, v147, v19, 1                               // 0000000084F8: D1FF0010 02062793
	v_cndmask_b32_e64 v5, v16, v18, s[46:47]                   // 000000008500: D1000005 00BA2510
	v_perm_b32 v117, v5, v4, s52                               // 000000008508: D1ED0075 00D20905
	v_cmp_u_f32_e64 s[46:47], v148, v148                       // 000000008510: D048002E 00032994
	v_add3_u32 v16, v148, v19, 1                               // 000000008518: D1FF0010 02062794
	v_cndmask_b32_e64 v4, v16, v18, s[46:47]                   // 000000008520: D1000004 00BA2510
	v_cmp_u_f32_e64 s[46:47], v149, v149                       // 000000008528: D048002E 00032B95
	v_add3_u32 v16, v149, v19, 1                               // 000000008530: D1FF0010 02062795
	v_cndmask_b32_e64 v5, v16, v18, s[46:47]                   // 000000008538: D1000005 00BA2510
	v_perm_b32 v118, v5, v4, s52                               // 000000008540: D1ED0076 00D20905
	v_cmp_u_f32_e64 s[46:47], v150, v150                       // 000000008548: D048002E 00032D96
	v_add3_u32 v16, v150, v19, 1                               // 000000008550: D1FF0010 02062796
	v_cndmask_b32_e64 v4, v16, v18, s[46:47]                   // 000000008558: D1000004 00BA2510
	v_cmp_u_f32_e64 s[46:47], v151, v151                       // 000000008560: D048002E 00032F97
	v_add3_u32 v16, v151, v19, 1                               // 000000008568: D1FF0010 02062797
	v_cndmask_b32_e64 v5, v16, v18, s[46:47]                   // 000000008570: D1000005 00BA2510
	v_perm_b32 v119, v5, v4, s52                               // 000000008578: D1ED0077 00D20905
	v_cmp_u_f32_e64 s[46:47], v152, v152                       // 000000008580: D048002E 00033198
	v_add3_u32 v16, v152, v19, 1                               // 000000008588: D1FF0010 02062798
	v_cndmask_b32_e64 v4, v16, v18, s[46:47]                   // 000000008590: D1000004 00BA2510
	v_cmp_u_f32_e64 s[46:47], v153, v153                       // 000000008598: D048002E 00033399
	v_add3_u32 v16, v153, v19, 1                               // 0000000085A0: D1FF0010 02062799
	v_cndmask_b32_e64 v5, v16, v18, s[46:47]                   // 0000000085A8: D1000005 00BA2510
	v_perm_b32 v120, v5, v4, s52                               // 0000000085B0: D1ED0078 00D20905
	v_cmp_u_f32_e64 s[46:47], v154, v154                       // 0000000085B8: D048002E 0003359A
	v_add3_u32 v16, v154, v19, 1                               // 0000000085C0: D1FF0010 0206279A
	v_cndmask_b32_e64 v4, v16, v18, s[46:47]                   // 0000000085C8: D1000004 00BA2510
	v_cmp_u_f32_e64 s[46:47], v155, v155                       // 0000000085D0: D048002E 0003379B
	v_add3_u32 v16, v155, v19, 1                               // 0000000085D8: D1FF0010 0206279B
	v_cndmask_b32_e64 v5, v16, v18, s[46:47]                   // 0000000085E0: D1000005 00BA2510
	v_perm_b32 v121, v5, v4, s52                               // 0000000085E8: D1ED0079 00D20905
	v_cmp_u_f32_e64 s[46:47], v156, v156                       // 0000000085F0: D048002E 0003399C
	v_add3_u32 v16, v156, v19, 1                               // 0000000085F8: D1FF0010 0206279C
	v_cndmask_b32_e64 v4, v16, v18, s[46:47]                   // 000000008600: D1000004 00BA2510
	v_cmp_u_f32_e64 s[46:47], v157, v157                       // 000000008608: D048002E 00033B9D
	v_add3_u32 v16, v157, v19, 1                               // 000000008610: D1FF0010 0206279D
	v_cndmask_b32_e64 v5, v16, v18, s[46:47]                   // 000000008618: D1000005 00BA2510
	v_perm_b32 v122, v5, v4, s52                               // 000000008620: D1ED007A 00D20905
	v_cmp_u_f32_e64 s[46:47], v158, v158                       // 000000008628: D048002E 00033D9E
	v_add3_u32 v16, v158, v19, 1                               // 000000008630: D1FF0010 0206279E
	v_cndmask_b32_e64 v4, v16, v18, s[46:47]                   // 000000008638: D1000004 00BA2510
	v_cmp_u_f32_e64 s[46:47], v159, v159                       // 000000008640: D048002E 00033F9F
	v_add3_u32 v16, v159, v19, 1                               // 000000008648: D1FF0010 0206279F
	v_cndmask_b32_e64 v5, v16, v18, s[46:47]                   // 000000008650: D1000005 00BA2510
	v_perm_b32 v123, v5, v4, s52                               // 000000008658: D1ED007B 00D20905
	ds_write_b64 v20, v[88:89]                                 // 000000008660: D89A0000 00005814
	ds_write_b64 v20, v[90:91] offset:4352                     // 000000008668: D89A1100 00005A14
	ds_write_b64 v20, v[92:93] offset:8704                     // 000000008670: D89A2200 00005C14
	ds_write_b64 v20, v[94:95] offset:13056                    // 000000008678: D89A3300 00005E14
	ds_write_b64 v20, v[96:97] offset:17408                    // 000000008680: D89A4400 00006014
	ds_write_b64 v20, v[98:99] offset:21760                    // 000000008688: D89A5500 00006214
	ds_write_b64 v20, v[100:101] offset:26112                  // 000000008690: D89A6600 00006414
	ds_write_b64 v20, v[102:103] offset:30464                  // 000000008698: D89A7700 00006614
	ds_write_b64 v20, v[104:105] offset:34816                  // 0000000086A0: D89A8800 00006814
	ds_write_b64 v20, v[106:107] offset:2176                   // 0000000086A8: D89A0880 00006A14
	ds_write_b64 v20, v[108:109] offset:6528                   // 0000000086B0: D89A1980 00006C14
	ds_write_b64 v20, v[110:111] offset:10880                  // 0000000086B8: D89A2A80 00006E14
	ds_write_b64 v20, v[112:113] offset:15232                  // 0000000086C0: D89A3B80 00007014
	ds_write_b64 v20, v[114:115] offset:19584                  // 0000000086C8: D89A4C80 00007214
	ds_write_b64 v20, v[116:117] offset:23936                  // 0000000086D0: D89A5D80 00007414
	ds_write_b64 v20, v[118:119] offset:28288                  // 0000000086D8: D89A6E80 00007614
	ds_write_b64 v20, v[120:121] offset:32640                  // 0000000086E0: D89A7F80 00007814
	ds_write_b64 v20, v[122:123] offset:36992                  // 0000000086E8: D89A9080 00007A14
	v_lshrrev_b32_e32 v4, 5, v0                                // 0000000086F0: 20080085
	v_xor_b32_e32 v5, 1, v4                                    // 0000000086F4: 2A0A0881
	s_mul_i32 s60, s65, 2                                      // 0000000086F8: 923C8241
	s_cmp_eq_u32 s88, 0                                        // 0000000086FC: BF068058
	s_cselect_b32 s61, 1, 4                                    // 000000008700: 853D8481
	s_mul_i32 s60, s61, s60                                    // 000000008704: 923C3C3D
	v_readlane_b32 s82, v3, 0                                  // 000000008708: D2890052 00010103
	s_lshr_b32 s61, s82, 24                                    // 000000008710: 8F3D9852
	s_and_b32 s82, s82, 0xffffff                               // 000000008714: 8652FF52 00FFFFFF
	s_mul_i32 s82, s82, s71                                    // 00000000871C: 92524752
	s_mul_i32 s61, s60, s61                                    // 000000008720: 923D3D3C
	s_add_u32 s82, s82, s61                                    // 000000008724: 80523D52
	v_mul_lo_u32 v6, v5, s82                                   // 000000008728: D2850006 0000A505
	v_readlane_b32 s82, v3, 1                                  // 000000008730: D2890052 00010303
	s_lshr_b32 s61, s82, 24                                    // 000000008738: 8F3D9852
	s_and_b32 s82, s82, 0xffffff                               // 00000000873C: 8652FF52 00FFFFFF
	s_mul_i32 s82, s82, s71                                    // 000000008744: 92524752
	s_mul_i32 s61, s60, s61                                    // 000000008748: 923D3D3C
	s_add_u32 s82, s82, s61                                    // 00000000874C: 80523D52
	v_mul_lo_u32 v7, v4, s82                                   // 000000008750: D2850007 0000A504
	v_add_u32_e32 v66, v6, v7                                  // 000000008758: 68840F06
	v_readlane_b32 s82, v3, 2                                  // 00000000875C: D2890052 00010503
	s_lshr_b32 s61, s82, 24                                    // 000000008764: 8F3D9852
	s_and_b32 s82, s82, 0xffffff                               // 000000008768: 8652FF52 00FFFFFF
	s_mul_i32 s82, s82, s71                                    // 000000008770: 92524752
	s_mul_i32 s61, s60, s61                                    // 000000008774: 923D3D3C
	s_add_u32 s82, s82, s61                                    // 000000008778: 80523D52
	v_mul_lo_u32 v6, v5, s82                                   // 00000000877C: D2850006 0000A505
	v_readlane_b32 s82, v3, 3                                  // 000000008784: D2890052 00010703
	s_lshr_b32 s61, s82, 24                                    // 00000000878C: 8F3D9852
	s_and_b32 s82, s82, 0xffffff                               // 000000008790: 8652FF52 00FFFFFF
	s_mul_i32 s82, s82, s71                                    // 000000008798: 92524752
	s_mul_i32 s61, s60, s61                                    // 00000000879C: 923D3D3C
	s_add_u32 s82, s82, s61                                    // 0000000087A0: 80523D52
	v_mul_lo_u32 v7, v4, s82                                   // 0000000087A4: D2850007 0000A504
	v_add_u32_e32 v67, v6, v7                                  // 0000000087AC: 68860F06
	v_readlane_b32 s82, v3, 4                                  // 0000000087B0: D2890052 00010903
	s_lshr_b32 s61, s82, 24                                    // 0000000087B8: 8F3D9852
	s_and_b32 s82, s82, 0xffffff                               // 0000000087BC: 8652FF52 00FFFFFF
	s_mul_i32 s82, s82, s71                                    // 0000000087C4: 92524752
	s_mul_i32 s61, s60, s61                                    // 0000000087C8: 923D3D3C
	s_add_u32 s82, s82, s61                                    // 0000000087CC: 80523D52
	v_mul_lo_u32 v6, v5, s82                                   // 0000000087D0: D2850006 0000A505
	v_readlane_b32 s82, v3, 5                                  // 0000000087D8: D2890052 00010B03
	s_lshr_b32 s61, s82, 24                                    // 0000000087E0: 8F3D9852
	s_and_b32 s82, s82, 0xffffff                               // 0000000087E4: 8652FF52 00FFFFFF
	s_mul_i32 s82, s82, s71                                    // 0000000087EC: 92524752
	s_mul_i32 s61, s60, s61                                    // 0000000087F0: 923D3D3C
	s_add_u32 s82, s82, s61                                    // 0000000087F4: 80523D52
	v_mul_lo_u32 v7, v4, s82                                   // 0000000087F8: D2850007 0000A504
	v_add_u32_e32 v68, v6, v7                                  // 000000008800: 68880F06
	v_readlane_b32 s82, v3, 6                                  // 000000008804: D2890052 00010D03
	s_lshr_b32 s61, s82, 24                                    // 00000000880C: 8F3D9852
	s_and_b32 s82, s82, 0xffffff                               // 000000008810: 8652FF52 00FFFFFF
	s_mul_i32 s82, s82, s71                                    // 000000008818: 92524752
	s_mul_i32 s61, s60, s61                                    // 00000000881C: 923D3D3C
	s_add_u32 s82, s82, s61                                    // 000000008820: 80523D52
	v_mul_lo_u32 v6, v5, s82                                   // 000000008824: D2850006 0000A505
	v_readlane_b32 s82, v3, 7                                  // 00000000882C: D2890052 00010F03
	s_lshr_b32 s61, s82, 24                                    // 000000008834: 8F3D9852
	s_and_b32 s82, s82, 0xffffff                               // 000000008838: 8652FF52 00FFFFFF
	s_mul_i32 s82, s82, s71                                    // 000000008840: 92524752
	s_mul_i32 s61, s60, s61                                    // 000000008844: 923D3D3C
	s_add_u32 s82, s82, s61                                    // 000000008848: 80523D52
	v_mul_lo_u32 v7, v4, s82                                   // 00000000884C: D2850007 0000A504
	v_add_u32_e32 v69, v6, v7                                  // 000000008854: 688A0F06
	v_readlane_b32 s82, v3, 8                                  // 000000008858: D2890052 00011103
	s_lshr_b32 s61, s82, 24                                    // 000000008860: 8F3D9852
	s_and_b32 s82, s82, 0xffffff                               // 000000008864: 8652FF52 00FFFFFF
	s_mul_i32 s82, s82, s71                                    // 00000000886C: 92524752
	s_mul_i32 s61, s60, s61                                    // 000000008870: 923D3D3C
	s_add_u32 s82, s82, s61                                    // 000000008874: 80523D52
	v_mul_lo_u32 v6, v5, s82                                   // 000000008878: D2850006 0000A505
	v_readlane_b32 s82, v3, 9                                  // 000000008880: D2890052 00011303
	s_lshr_b32 s61, s82, 24                                    // 000000008888: 8F3D9852
	s_and_b32 s82, s82, 0xffffff                               // 00000000888C: 8652FF52 00FFFFFF
	s_mul_i32 s82, s82, s71                                    // 000000008894: 92524752
	s_mul_i32 s61, s60, s61                                    // 000000008898: 923D3D3C
	s_add_u32 s82, s82, s61                                    // 00000000889C: 80523D52
	v_mul_lo_u32 v7, v4, s82                                   // 0000000088A0: D2850007 0000A504
	v_add_u32_e32 v70, v6, v7                                  // 0000000088A8: 688C0F06
	v_readlane_b32 s82, v3, 10                                 // 0000000088AC: D2890052 00011503
	s_lshr_b32 s61, s82, 24                                    // 0000000088B4: 8F3D9852
	s_and_b32 s82, s82, 0xffffff                               // 0000000088B8: 8652FF52 00FFFFFF
	s_mul_i32 s82, s82, s71                                    // 0000000088C0: 92524752
	s_mul_i32 s61, s60, s61                                    // 0000000088C4: 923D3D3C
	s_add_u32 s82, s82, s61                                    // 0000000088C8: 80523D52
	v_mul_lo_u32 v6, v5, s82                                   // 0000000088CC: D2850006 0000A505
	v_readlane_b32 s82, v3, 11                                 // 0000000088D4: D2890052 00011703
	s_lshr_b32 s61, s82, 24                                    // 0000000088DC: 8F3D9852
	s_and_b32 s82, s82, 0xffffff                               // 0000000088E0: 8652FF52 00FFFFFF
	s_mul_i32 s82, s82, s71                                    // 0000000088E8: 92524752
	s_mul_i32 s61, s60, s61                                    // 0000000088EC: 923D3D3C
	s_add_u32 s82, s82, s61                                    // 0000000088F0: 80523D52
	v_mul_lo_u32 v7, v4, s82                                   // 0000000088F4: D2850007 0000A504
	v_add_u32_e32 v71, v6, v7                                  // 0000000088FC: 688E0F06
	v_readlane_b32 s82, v3, 12                                 // 000000008900: D2890052 00011903
	s_lshr_b32 s61, s82, 24                                    // 000000008908: 8F3D9852
	s_and_b32 s82, s82, 0xffffff                               // 00000000890C: 8652FF52 00FFFFFF
	s_mul_i32 s82, s82, s71                                    // 000000008914: 92524752
	s_mul_i32 s61, s60, s61                                    // 000000008918: 923D3D3C
	s_add_u32 s82, s82, s61                                    // 00000000891C: 80523D52
	v_mul_lo_u32 v6, v5, s82                                   // 000000008920: D2850006 0000A505
	v_readlane_b32 s82, v3, 13                                 // 000000008928: D2890052 00011B03
	s_lshr_b32 s61, s82, 24                                    // 000000008930: 8F3D9852
	s_and_b32 s82, s82, 0xffffff                               // 000000008934: 8652FF52 00FFFFFF
	s_mul_i32 s82, s82, s71                                    // 00000000893C: 92524752
	s_mul_i32 s61, s60, s61                                    // 000000008940: 923D3D3C
	s_add_u32 s82, s82, s61                                    // 000000008944: 80523D52
	v_mul_lo_u32 v7, v4, s82                                   // 000000008948: D2850007 0000A504
	v_add_u32_e32 v72, v6, v7                                  // 000000008950: 68900F06
	v_readlane_b32 s82, v3, 14                                 // 000000008954: D2890052 00011D03
	s_lshr_b32 s61, s82, 24                                    // 00000000895C: 8F3D9852
	s_and_b32 s82, s82, 0xffffff                               // 000000008960: 8652FF52 00FFFFFF
	s_mul_i32 s82, s82, s71                                    // 000000008968: 92524752
	s_mul_i32 s61, s60, s61                                    // 00000000896C: 923D3D3C
	s_add_u32 s82, s82, s61                                    // 000000008970: 80523D52
	v_mul_lo_u32 v6, v5, s82                                   // 000000008974: D2850006 0000A505
	v_readlane_b32 s82, v3, 15                                 // 00000000897C: D2890052 00011F03
	s_lshr_b32 s61, s82, 24                                    // 000000008984: 8F3D9852
	s_and_b32 s82, s82, 0xffffff                               // 000000008988: 8652FF52 00FFFFFF
	s_mul_i32 s82, s82, s71                                    // 000000008990: 92524752
	s_mul_i32 s61, s60, s61                                    // 000000008994: 923D3D3C
	s_add_u32 s82, s82, s61                                    // 000000008998: 80523D52
	v_mul_lo_u32 v7, v4, s82                                   // 00000000899C: D2850007 0000A504
	v_add_u32_e32 v73, v6, v7                                  // 0000000089A4: 68920F06
	v_readlane_b32 s82, v3, 16                                 // 0000000089A8: D2890052 00012103
	s_lshr_b32 s61, s82, 24                                    // 0000000089B0: 8F3D9852
	s_and_b32 s82, s82, 0xffffff                               // 0000000089B4: 8652FF52 00FFFFFF
	s_mul_i32 s82, s82, s71                                    // 0000000089BC: 92524752
	s_mul_i32 s61, s60, s61                                    // 0000000089C0: 923D3D3C
	s_add_u32 s82, s82, s61                                    // 0000000089C4: 80523D52
	v_mul_lo_u32 v6, v5, s82                                   // 0000000089C8: D2850006 0000A505
	v_readlane_b32 s82, v3, 17                                 // 0000000089D0: D2890052 00012303
	s_lshr_b32 s61, s82, 24                                    // 0000000089D8: 8F3D9852
	s_and_b32 s82, s82, 0xffffff                               // 0000000089DC: 8652FF52 00FFFFFF
	s_mul_i32 s82, s82, s71                                    // 0000000089E4: 92524752
	s_mul_i32 s61, s60, s61                                    // 0000000089E8: 923D3D3C
	s_add_u32 s82, s82, s61                                    // 0000000089EC: 80523D52
	v_mul_lo_u32 v7, v4, s82                                   // 0000000089F0: D2850007 0000A504
	v_add_u32_e32 v74, v6, v7                                  // 0000000089F8: 68940F06
	v_readlane_b32 s82, v3, 18                                 // 0000000089FC: D2890052 00012503
	s_lshr_b32 s61, s82, 24                                    // 000000008A04: 8F3D9852
	s_and_b32 s82, s82, 0xffffff                               // 000000008A08: 8652FF52 00FFFFFF
	s_mul_i32 s82, s82, s71                                    // 000000008A10: 92524752
	s_mul_i32 s61, s60, s61                                    // 000000008A14: 923D3D3C
	s_add_u32 s82, s82, s61                                    // 000000008A18: 80523D52
	v_mul_lo_u32 v6, v5, s82                                   // 000000008A1C: D2850006 0000A505
	v_readlane_b32 s82, v3, 19                                 // 000000008A24: D2890052 00012703
	s_lshr_b32 s61, s82, 24                                    // 000000008A2C: 8F3D9852
	s_and_b32 s82, s82, 0xffffff                               // 000000008A30: 8652FF52 00FFFFFF
	s_mul_i32 s82, s82, s71                                    // 000000008A38: 92524752
	s_mul_i32 s61, s60, s61                                    // 000000008A3C: 923D3D3C
	s_add_u32 s82, s82, s61                                    // 000000008A40: 80523D52
	v_mul_lo_u32 v7, v4, s82                                   // 000000008A44: D2850007 0000A504
	v_add_u32_e32 v75, v6, v7                                  // 000000008A4C: 68960F06
	v_readlane_b32 s82, v3, 20                                 // 000000008A50: D2890052 00012903
	s_lshr_b32 s61, s82, 24                                    // 000000008A58: 8F3D9852
	s_and_b32 s82, s82, 0xffffff                               // 000000008A5C: 8652FF52 00FFFFFF
	s_mul_i32 s82, s82, s71                                    // 000000008A64: 92524752
	s_mul_i32 s61, s60, s61                                    // 000000008A68: 923D3D3C
	s_add_u32 s82, s82, s61                                    // 000000008A6C: 80523D52
	v_mul_lo_u32 v6, v5, s82                                   // 000000008A70: D2850006 0000A505
	v_readlane_b32 s82, v3, 21                                 // 000000008A78: D2890052 00012B03
	s_lshr_b32 s61, s82, 24                                    // 000000008A80: 8F3D9852
	s_and_b32 s82, s82, 0xffffff                               // 000000008A84: 8652FF52 00FFFFFF
	s_mul_i32 s82, s82, s71                                    // 000000008A8C: 92524752
	s_mul_i32 s61, s60, s61                                    // 000000008A90: 923D3D3C
	s_add_u32 s82, s82, s61                                    // 000000008A94: 80523D52
	v_mul_lo_u32 v7, v4, s82                                   // 000000008A98: D2850007 0000A504
	v_add_u32_e32 v76, v6, v7                                  // 000000008AA0: 68980F06
	v_readlane_b32 s82, v3, 22                                 // 000000008AA4: D2890052 00012D03
	s_lshr_b32 s61, s82, 24                                    // 000000008AAC: 8F3D9852
	s_and_b32 s82, s82, 0xffffff                               // 000000008AB0: 8652FF52 00FFFFFF
	s_mul_i32 s82, s82, s71                                    // 000000008AB8: 92524752
	s_mul_i32 s61, s60, s61                                    // 000000008ABC: 923D3D3C
	s_add_u32 s82, s82, s61                                    // 000000008AC0: 80523D52
	v_mul_lo_u32 v6, v5, s82                                   // 000000008AC4: D2850006 0000A505
	v_readlane_b32 s82, v3, 23                                 // 000000008ACC: D2890052 00012F03
	s_lshr_b32 s61, s82, 24                                    // 000000008AD4: 8F3D9852
	s_and_b32 s82, s82, 0xffffff                               // 000000008AD8: 8652FF52 00FFFFFF
	s_mul_i32 s82, s82, s71                                    // 000000008AE0: 92524752
	s_mul_i32 s61, s60, s61                                    // 000000008AE4: 923D3D3C
	s_add_u32 s82, s82, s61                                    // 000000008AE8: 80523D52
	v_mul_lo_u32 v7, v4, s82                                   // 000000008AEC: D2850007 0000A504
	v_add_u32_e32 v77, v6, v7                                  // 000000008AF4: 689A0F06
	v_readlane_b32 s82, v3, 24                                 // 000000008AF8: D2890052 00013103
	s_lshr_b32 s61, s82, 24                                    // 000000008B00: 8F3D9852
	s_and_b32 s82, s82, 0xffffff                               // 000000008B04: 8652FF52 00FFFFFF
	s_mul_i32 s82, s82, s71                                    // 000000008B0C: 92524752
	s_mul_i32 s61, s60, s61                                    // 000000008B10: 923D3D3C
	s_add_u32 s82, s82, s61                                    // 000000008B14: 80523D52
	v_mul_lo_u32 v6, v5, s82                                   // 000000008B18: D2850006 0000A505
	v_readlane_b32 s82, v3, 25                                 // 000000008B20: D2890052 00013303
	s_lshr_b32 s61, s82, 24                                    // 000000008B28: 8F3D9852
	s_and_b32 s82, s82, 0xffffff                               // 000000008B2C: 8652FF52 00FFFFFF
	s_mul_i32 s82, s82, s71                                    // 000000008B34: 92524752
	s_mul_i32 s61, s60, s61                                    // 000000008B38: 923D3D3C
	s_add_u32 s82, s82, s61                                    // 000000008B3C: 80523D52
	v_mul_lo_u32 v7, v4, s82                                   // 000000008B40: D2850007 0000A504
	v_add_u32_e32 v78, v6, v7                                  // 000000008B48: 689C0F06
	v_readlane_b32 s82, v3, 26                                 // 000000008B4C: D2890052 00013503
	s_lshr_b32 s61, s82, 24                                    // 000000008B54: 8F3D9852
	s_and_b32 s82, s82, 0xffffff                               // 000000008B58: 8652FF52 00FFFFFF
	s_mul_i32 s82, s82, s71                                    // 000000008B60: 92524752
	s_mul_i32 s61, s60, s61                                    // 000000008B64: 923D3D3C
	s_add_u32 s82, s82, s61                                    // 000000008B68: 80523D52
	v_mul_lo_u32 v6, v5, s82                                   // 000000008B6C: D2850006 0000A505
	v_readlane_b32 s82, v3, 27                                 // 000000008B74: D2890052 00013703
	s_lshr_b32 s61, s82, 24                                    // 000000008B7C: 8F3D9852
	s_and_b32 s82, s82, 0xffffff                               // 000000008B80: 8652FF52 00FFFFFF
	s_mul_i32 s82, s82, s71                                    // 000000008B88: 92524752
	s_mul_i32 s61, s60, s61                                    // 000000008B8C: 923D3D3C
	s_add_u32 s82, s82, s61                                    // 000000008B90: 80523D52
	v_mul_lo_u32 v7, v4, s82                                   // 000000008B94: D2850007 0000A504
	v_add_u32_e32 v79, v6, v7                                  // 000000008B9C: 689E0F06
	v_readlane_b32 s82, v3, 28                                 // 000000008BA0: D2890052 00013903
	s_lshr_b32 s61, s82, 24                                    // 000000008BA8: 8F3D9852
	s_and_b32 s82, s82, 0xffffff                               // 000000008BAC: 8652FF52 00FFFFFF
	s_mul_i32 s82, s82, s71                                    // 000000008BB4: 92524752
	s_mul_i32 s61, s60, s61                                    // 000000008BB8: 923D3D3C
	s_add_u32 s82, s82, s61                                    // 000000008BBC: 80523D52
	v_mul_lo_u32 v6, v5, s82                                   // 000000008BC0: D2850006 0000A505
	v_readlane_b32 s82, v3, 29                                 // 000000008BC8: D2890052 00013B03
	s_lshr_b32 s61, s82, 24                                    // 000000008BD0: 8F3D9852
	s_and_b32 s82, s82, 0xffffff                               // 000000008BD4: 8652FF52 00FFFFFF
	s_mul_i32 s82, s82, s71                                    // 000000008BDC: 92524752
	s_mul_i32 s61, s60, s61                                    // 000000008BE0: 923D3D3C
	s_add_u32 s82, s82, s61                                    // 000000008BE4: 80523D52
	v_mul_lo_u32 v7, v4, s82                                   // 000000008BE8: D2850007 0000A504
	v_add_u32_e32 v80, v6, v7                                  // 000000008BF0: 68A00F06
	v_readlane_b32 s82, v3, 30                                 // 000000008BF4: D2890052 00013D03
	s_lshr_b32 s61, s82, 24                                    // 000000008BFC: 8F3D9852
	s_and_b32 s82, s82, 0xffffff                               // 000000008C00: 8652FF52 00FFFFFF
	s_mul_i32 s82, s82, s71                                    // 000000008C08: 92524752
	s_mul_i32 s61, s60, s61                                    // 000000008C0C: 923D3D3C
	s_add_u32 s82, s82, s61                                    // 000000008C10: 80523D52
	v_mul_lo_u32 v6, v5, s82                                   // 000000008C14: D2850006 0000A505
	v_readlane_b32 s82, v3, 31                                 // 000000008C1C: D2890052 00013F03
	s_lshr_b32 s61, s82, 24                                    // 000000008C24: 8F3D9852
	s_and_b32 s82, s82, 0xffffff                               // 000000008C28: 8652FF52 00FFFFFF
	s_mul_i32 s82, s82, s71                                    // 000000008C30: 92524752
	s_mul_i32 s61, s60, s61                                    // 000000008C34: 923D3D3C
	s_add_u32 s82, s82, s61                                    // 000000008C38: 80523D52
	v_mul_lo_u32 v7, v4, s82                                   // 000000008C3C: D2850007 0000A504
	v_add_u32_e32 v81, v6, v7                                  // 000000008C44: 68A20F06
	v_readlane_b32 s82, v3, 32                                 // 000000008C48: D2890052 00014103
	s_lshr_b32 s61, s82, 24                                    // 000000008C50: 8F3D9852
	s_and_b32 s82, s82, 0xffffff                               // 000000008C54: 8652FF52 00FFFFFF
	s_mul_i32 s82, s82, s71                                    // 000000008C5C: 92524752
	s_mul_i32 s61, s60, s61                                    // 000000008C60: 923D3D3C
	s_add_u32 s82, s82, s61                                    // 000000008C64: 80523D52
	v_mul_lo_u32 v6, v5, s82                                   // 000000008C68: D2850006 0000A505
	v_readlane_b32 s82, v3, 33                                 // 000000008C70: D2890052 00014303
	s_lshr_b32 s61, s82, 24                                    // 000000008C78: 8F3D9852
	s_and_b32 s82, s82, 0xffffff                               // 000000008C7C: 8652FF52 00FFFFFF
	s_mul_i32 s82, s82, s71                                    // 000000008C84: 92524752
	s_mul_i32 s61, s60, s61                                    // 000000008C88: 923D3D3C
	s_add_u32 s82, s82, s61                                    // 000000008C8C: 80523D52
	v_mul_lo_u32 v7, v4, s82                                   // 000000008C90: D2850007 0000A504
	v_add_u32_e32 v82, v6, v7                                  // 000000008C98: 68A40F06
	v_readlane_b32 s82, v3, 34                                 // 000000008C9C: D2890052 00014503
	s_lshr_b32 s61, s82, 24                                    // 000000008CA4: 8F3D9852
	s_and_b32 s82, s82, 0xffffff                               // 000000008CA8: 8652FF52 00FFFFFF
	s_mul_i32 s82, s82, s71                                    // 000000008CB0: 92524752
	s_mul_i32 s61, s60, s61                                    // 000000008CB4: 923D3D3C
	s_add_u32 s82, s82, s61                                    // 000000008CB8: 80523D52
	v_mul_lo_u32 v6, v5, s82                                   // 000000008CBC: D2850006 0000A505
	v_readlane_b32 s82, v3, 35                                 // 000000008CC4: D2890052 00014703
	s_lshr_b32 s61, s82, 24                                    // 000000008CCC: 8F3D9852
	s_and_b32 s82, s82, 0xffffff                               // 000000008CD0: 8652FF52 00FFFFFF
	s_mul_i32 s82, s82, s71                                    // 000000008CD8: 92524752
	s_mul_i32 s61, s60, s61                                    // 000000008CDC: 923D3D3C
	s_add_u32 s82, s82, s61                                    // 000000008CE0: 80523D52
	v_mul_lo_u32 v7, v4, s82                                   // 000000008CE4: D2850007 0000A504
	v_add_u32_e32 v83, v6, v7                                  // 000000008CEC: 68A60F06
	v_and_b32_e32 v4, 31, v0                                   // 000000008CF0: 2608009F
	v_lshrrev_b32_e32 v4, 1, v4                                // 000000008CF4: 20080881
	s_cmp_eq_u32 s88, 0                                        // 000000008CF8: BF068058
	s_cselect_b32 s61, 2, 4                                    // 000000008CFC: 853D8482
	v_mul_lo_u32 v4, v4, s61                                   // 000000008D00: D2850004 00007B04
	v_and_b32_e64 v5, v0, 1                                    // 000000008D08: D1130005 00010300
	v_add_u32_e32 v4, v4, v5                                   // 000000008D10: 68080B04
	v_lshlrev_b32_e32 v4, 2, v4                                // 000000008D14: 24080882
	v_add_u32_e32 v66, v66, v4                                 // 000000008D18: 68840942
	v_add_u32_e32 v67, v67, v4                                 // 000000008D1C: 68860943
	v_add_u32_e32 v68, v68, v4                                 // 000000008D20: 68880944
	v_add_u32_e32 v69, v69, v4                                 // 000000008D24: 688A0945
	v_add_u32_e32 v70, v70, v4                                 // 000000008D28: 688C0946
	v_add_u32_e32 v71, v71, v4                                 // 000000008D2C: 688E0947
	v_add_u32_e32 v72, v72, v4                                 // 000000008D30: 68900948
	v_add_u32_e32 v73, v73, v4                                 // 000000008D34: 68920949
	v_add_u32_e32 v74, v74, v4                                 // 000000008D38: 6894094A
	v_add_u32_e32 v75, v75, v4                                 // 000000008D3C: 6896094B
	v_add_u32_e32 v76, v76, v4                                 // 000000008D40: 6898094C
	v_add_u32_e32 v77, v77, v4                                 // 000000008D44: 689A094D
	v_add_u32_e32 v78, v78, v4                                 // 000000008D48: 689C094E
	v_add_u32_e32 v79, v79, v4                                 // 000000008D4C: 689E094F
	v_add_u32_e32 v80, v80, v4                                 // 000000008D50: 68A00950
	v_add_u32_e32 v81, v81, v4                                 // 000000008D54: 68A20951
	v_add_u32_e32 v82, v82, v4                                 // 000000008D58: 68A40952
	v_add_u32_e32 v83, v83, v4                                 // 000000008D5C: 68A60953
	s_waitcnt lgkmcnt(0)                                       // 000000008D60: BF8CC07F
	s_barrier                                                  // 000000008D64: BF8A0000
	ds_read_b32 v88, v21                                       // 000000008D68: D86C0000 58000015
	ds_read_b32 v89, v21 offset:64                             // 000000008D70: D86C0040 59000015
	ds_read_b32 v90, v21 offset:2176                           // 000000008D78: D86C0880 5A000015
	ds_read_b32 v91, v21 offset:2240                           // 000000008D80: D86C08C0 5B000015
	ds_read_b32 v92, v21 offset:4352                           // 000000008D88: D86C1100 5C000015
	ds_read_b32 v93, v21 offset:4416                           // 000000008D90: D86C1140 5D000015
	ds_read_b32 v94, v21 offset:6528                           // 000000008D98: D86C1980 5E000015
	ds_read_b32 v95, v21 offset:6592                           // 000000008DA0: D86C19C0 5F000015
	ds_read_b32 v96, v21 offset:8704                           // 000000008DA8: D86C2200 60000015
	ds_read_b32 v97, v21 offset:8768                           // 000000008DB0: D86C2240 61000015
	ds_read_b32 v98, v21 offset:10880                          // 000000008DB8: D86C2A80 62000015
	ds_read_b32 v99, v21 offset:10944                          // 000000008DC0: D86C2AC0 63000015
	ds_read_b32 v100, v21 offset:13056                         // 000000008DC8: D86C3300 64000015
	ds_read_b32 v101, v21 offset:13120                         // 000000008DD0: D86C3340 65000015
	ds_read_b32 v102, v21 offset:15232                         // 000000008DD8: D86C3B80 66000015
	ds_read_b32 v103, v21 offset:15296                         // 000000008DE0: D86C3BC0 67000015
	ds_read_b32 v104, v21 offset:17408                         // 000000008DE8: D86C4400 68000015
	ds_read_b32 v105, v21 offset:17472                         // 000000008DF0: D86C4440 69000015
	ds_read_b32 v106, v21 offset:19584                         // 000000008DF8: D86C4C80 6A000015
	ds_read_b32 v107, v21 offset:19648                         // 000000008E00: D86C4CC0 6B000015
	ds_read_b32 v108, v21 offset:21760                         // 000000008E08: D86C5500 6C000015
	ds_read_b32 v109, v21 offset:21824                         // 000000008E10: D86C5540 6D000015
	ds_read_b32 v110, v21 offset:23936                         // 000000008E18: D86C5D80 6E000015
	ds_read_b32 v111, v21 offset:24000                         // 000000008E20: D86C5DC0 6F000015
	ds_read_b32 v112, v21 offset:26112                         // 000000008E28: D86C6600 70000015
	ds_read_b32 v113, v21 offset:26176                         // 000000008E30: D86C6640 71000015
	ds_read_b32 v114, v21 offset:28288                         // 000000008E38: D86C6E80 72000015
	ds_read_b32 v115, v21 offset:28352                         // 000000008E40: D86C6EC0 73000015
	ds_read_b32 v116, v21 offset:30464                         // 000000008E48: D86C7700 74000015
	ds_read_b32 v117, v21 offset:30528                         // 000000008E50: D86C7740 75000015
	ds_read_b32 v118, v21 offset:32640                         // 000000008E58: D86C7F80 76000015
	ds_read_b32 v119, v21 offset:32704                         // 000000008E60: D86C7FC0 77000015
	ds_read_b32 v120, v21 offset:34816                         // 000000008E68: D86C8800 78000015
	ds_read_b32 v121, v21 offset:34880                         // 000000008E70: D86C8840 79000015
	ds_read_b32 v122, v21 offset:36992                         // 000000008E78: D86C9080 7A000015
	ds_read_b32 v123, v21 offset:37056                         // 000000008E80: D86C90C0 7B000015
	s_waitcnt lgkmcnt(0)                                       // 000000008E88: BF8CC07F
	s_mov_b32 s36, -1                                          // 000000008E8C: BEA400C1
	s_mov_b32 s37, -1                                          // 000000008E90: BEA500C1
	v_mov_b32_e32 v7, 0                                        // 000000008E94: 7E0E0280
	s_or_b32 s9, s9, 0x40000                                   // 000000008E98: 8709FF09 00040000
	s_mov_b64 exec, s[36:37]                                   // 000000008EA0: BEFE0124
	v_mov_b32_e32 v6, v66                                      // 000000008EA4: 7E0C0342
	s_mov_b64 s[60:61], 0                                      // 000000008EA8: BEBC0180
	v_readlane_b32 s82, v3, 0                                  // 000000008EAC: D2890052 00010103
	s_and_b32 s82, s82, 0xffffff                               // 000000008EB4: 8652FF52 00FFFFFF
	s_cmp_lt_u32 s82, s66                                      // 000000008EBC: BF0A4252
	s_cselect_b32 s20, s36, s60                                // 000000008EC0: 85143C24
	v_readlane_b32 s82, v3, 1                                  // 000000008EC4: D2890052 00010303
	s_and_b32 s82, s82, 0xffffff                               // 000000008ECC: 8652FF52 00FFFFFF
	s_cmp_lt_u32 s82, s66                                      // 000000008ED4: BF0A4252
	s_cselect_b32 s21, s36, s60                                // 000000008ED8: 85153C24
	s_mov_b64 exec, s[20:21]                                   // 000000008EDC: BEFE0114
	buffer_store_dword v88, v6, s[8:11], 0 offen               // 000000008EE0: E0701000 80025806
	buffer_store_dword v90, v6, s[8:11], 0 offen offset:128    // 000000008EE8: E0701080 80025A06
	s_mov_b64 exec, s[36:37]                                   // 000000008EF0: BEFE0124
	v_mov_b32_e32 v6, v67                                      // 000000008EF4: 7E0C0343
	s_mov_b64 s[60:61], 0                                      // 000000008EF8: BEBC0180
	v_readlane_b32 s82, v3, 2                                  // 000000008EFC: D2890052 00010503
	s_and_b32 s82, s82, 0xffffff                               // 000000008F04: 8652FF52 00FFFFFF
	s_cmp_lt_u32 s82, s66                                      // 000000008F0C: BF0A4252
	s_cselect_b32 s20, s36, s60                                // 000000008F10: 85143C24
	v_readlane_b32 s82, v3, 3                                  // 000000008F14: D2890052 00010703
	s_and_b32 s82, s82, 0xffffff                               // 000000008F1C: 8652FF52 00FFFFFF
	s_cmp_lt_u32 s82, s66                                      // 000000008F24: BF0A4252
	s_cselect_b32 s21, s36, s60                                // 000000008F28: 85153C24
	s_mov_b64 exec, s[20:21]                                   // 000000008F2C: BEFE0114
	buffer_store_dword v89, v6, s[8:11], 0 offen               // 000000008F30: E0701000 80025906
	buffer_store_dword v91, v6, s[8:11], 0 offen offset:128    // 000000008F38: E0701080 80025B06
	s_mov_b64 exec, s[36:37]                                   // 000000008F40: BEFE0124
	v_mov_b32_e32 v6, v68                                      // 000000008F44: 7E0C0344
	s_mov_b64 s[60:61], 0                                      // 000000008F48: BEBC0180
	v_readlane_b32 s82, v3, 4                                  // 000000008F4C: D2890052 00010903
	s_and_b32 s82, s82, 0xffffff                               // 000000008F54: 8652FF52 00FFFFFF
	s_cmp_lt_u32 s82, s66                                      // 000000008F5C: BF0A4252
	s_cselect_b32 s20, s36, s60                                // 000000008F60: 85143C24
	v_readlane_b32 s82, v3, 5                                  // 000000008F64: D2890052 00010B03
	s_and_b32 s82, s82, 0xffffff                               // 000000008F6C: 8652FF52 00FFFFFF
	s_cmp_lt_u32 s82, s66                                      // 000000008F74: BF0A4252
	s_cselect_b32 s21, s36, s60                                // 000000008F78: 85153C24
	s_mov_b64 exec, s[20:21]                                   // 000000008F7C: BEFE0114
	buffer_store_dword v92, v6, s[8:11], 0 offen               // 000000008F80: E0701000 80025C06
	buffer_store_dword v94, v6, s[8:11], 0 offen offset:128    // 000000008F88: E0701080 80025E06
	s_mov_b64 exec, s[36:37]                                   // 000000008F90: BEFE0124
	v_mov_b32_e32 v6, v69                                      // 000000008F94: 7E0C0345
	s_mov_b64 s[60:61], 0                                      // 000000008F98: BEBC0180
	v_readlane_b32 s82, v3, 6                                  // 000000008F9C: D2890052 00010D03
	s_and_b32 s82, s82, 0xffffff                               // 000000008FA4: 8652FF52 00FFFFFF
	s_cmp_lt_u32 s82, s66                                      // 000000008FAC: BF0A4252
	s_cselect_b32 s20, s36, s60                                // 000000008FB0: 85143C24
	v_readlane_b32 s82, v3, 7                                  // 000000008FB4: D2890052 00010F03
	s_and_b32 s82, s82, 0xffffff                               // 000000008FBC: 8652FF52 00FFFFFF
	s_cmp_lt_u32 s82, s66                                      // 000000008FC4: BF0A4252
	s_cselect_b32 s21, s36, s60                                // 000000008FC8: 85153C24
	s_mov_b64 exec, s[20:21]                                   // 000000008FCC: BEFE0114
	buffer_store_dword v93, v6, s[8:11], 0 offen               // 000000008FD0: E0701000 80025D06
	buffer_store_dword v95, v6, s[8:11], 0 offen offset:128    // 000000008FD8: E0701080 80025F06
	s_mov_b64 exec, s[36:37]                                   // 000000008FE0: BEFE0124
	v_mov_b32_e32 v6, v70                                      // 000000008FE4: 7E0C0346
	s_mov_b64 s[60:61], 0                                      // 000000008FE8: BEBC0180
	v_readlane_b32 s82, v3, 8                                  // 000000008FEC: D2890052 00011103
	s_and_b32 s82, s82, 0xffffff                               // 000000008FF4: 8652FF52 00FFFFFF
	s_cmp_lt_u32 s82, s66                                      // 000000008FFC: BF0A4252
	s_cselect_b32 s20, s36, s60                                // 000000009000: 85143C24
	v_readlane_b32 s82, v3, 9                                  // 000000009004: D2890052 00011303
	s_and_b32 s82, s82, 0xffffff                               // 00000000900C: 8652FF52 00FFFFFF
	s_cmp_lt_u32 s82, s66                                      // 000000009014: BF0A4252
	s_cselect_b32 s21, s36, s60                                // 000000009018: 85153C24
	s_mov_b64 exec, s[20:21]                                   // 00000000901C: BEFE0114
	buffer_store_dword v96, v6, s[8:11], 0 offen               // 000000009020: E0701000 80026006
	buffer_store_dword v98, v6, s[8:11], 0 offen offset:128    // 000000009028: E0701080 80026206
	s_mov_b64 exec, s[36:37]                                   // 000000009030: BEFE0124
	v_mov_b32_e32 v6, v71                                      // 000000009034: 7E0C0347
	s_mov_b64 s[60:61], 0                                      // 000000009038: BEBC0180
	v_readlane_b32 s82, v3, 10                                 // 00000000903C: D2890052 00011503
	s_and_b32 s82, s82, 0xffffff                               // 000000009044: 8652FF52 00FFFFFF
	s_cmp_lt_u32 s82, s66                                      // 00000000904C: BF0A4252
	s_cselect_b32 s20, s36, s60                                // 000000009050: 85143C24
	v_readlane_b32 s82, v3, 11                                 // 000000009054: D2890052 00011703
	s_and_b32 s82, s82, 0xffffff                               // 00000000905C: 8652FF52 00FFFFFF
	s_cmp_lt_u32 s82, s66                                      // 000000009064: BF0A4252
	s_cselect_b32 s21, s36, s60                                // 000000009068: 85153C24
	s_mov_b64 exec, s[20:21]                                   // 00000000906C: BEFE0114
	buffer_store_dword v97, v6, s[8:11], 0 offen               // 000000009070: E0701000 80026106
	buffer_store_dword v99, v6, s[8:11], 0 offen offset:128    // 000000009078: E0701080 80026306
	s_mov_b64 exec, s[36:37]                                   // 000000009080: BEFE0124
	v_mov_b32_e32 v6, v72                                      // 000000009084: 7E0C0348
	s_mov_b64 s[60:61], 0                                      // 000000009088: BEBC0180
	v_readlane_b32 s82, v3, 12                                 // 00000000908C: D2890052 00011903
	s_and_b32 s82, s82, 0xffffff                               // 000000009094: 8652FF52 00FFFFFF
	s_cmp_lt_u32 s82, s66                                      // 00000000909C: BF0A4252
	s_cselect_b32 s20, s36, s60                                // 0000000090A0: 85143C24
	v_readlane_b32 s82, v3, 13                                 // 0000000090A4: D2890052 00011B03
	s_and_b32 s82, s82, 0xffffff                               // 0000000090AC: 8652FF52 00FFFFFF
	s_cmp_lt_u32 s82, s66                                      // 0000000090B4: BF0A4252
	s_cselect_b32 s21, s36, s60                                // 0000000090B8: 85153C24
	s_mov_b64 exec, s[20:21]                                   // 0000000090BC: BEFE0114
	buffer_store_dword v100, v6, s[8:11], 0 offen              // 0000000090C0: E0701000 80026406
	buffer_store_dword v102, v6, s[8:11], 0 offen offset:128   // 0000000090C8: E0701080 80026606
	s_mov_b64 exec, s[36:37]                                   // 0000000090D0: BEFE0124
	v_mov_b32_e32 v6, v73                                      // 0000000090D4: 7E0C0349
	s_mov_b64 s[60:61], 0                                      // 0000000090D8: BEBC0180
	v_readlane_b32 s82, v3, 14                                 // 0000000090DC: D2890052 00011D03
	s_and_b32 s82, s82, 0xffffff                               // 0000000090E4: 8652FF52 00FFFFFF
	s_cmp_lt_u32 s82, s66                                      // 0000000090EC: BF0A4252
	s_cselect_b32 s20, s36, s60                                // 0000000090F0: 85143C24
	v_readlane_b32 s82, v3, 15                                 // 0000000090F4: D2890052 00011F03
	s_and_b32 s82, s82, 0xffffff                               // 0000000090FC: 8652FF52 00FFFFFF
	s_cmp_lt_u32 s82, s66                                      // 000000009104: BF0A4252
	s_cselect_b32 s21, s36, s60                                // 000000009108: 85153C24
	s_mov_b64 exec, s[20:21]                                   // 00000000910C: BEFE0114
	buffer_store_dword v101, v6, s[8:11], 0 offen              // 000000009110: E0701000 80026506
	buffer_store_dword v103, v6, s[8:11], 0 offen offset:128   // 000000009118: E0701080 80026706
	s_mov_b64 exec, s[36:37]                                   // 000000009120: BEFE0124
	v_mov_b32_e32 v6, v74                                      // 000000009124: 7E0C034A
	s_mov_b64 s[60:61], 0                                      // 000000009128: BEBC0180
	v_readlane_b32 s82, v3, 16                                 // 00000000912C: D2890052 00012103
	s_and_b32 s82, s82, 0xffffff                               // 000000009134: 8652FF52 00FFFFFF
	s_cmp_lt_u32 s82, s66                                      // 00000000913C: BF0A4252
	s_cselect_b32 s20, s36, s60                                // 000000009140: 85143C24
	v_readlane_b32 s82, v3, 17                                 // 000000009144: D2890052 00012303
	s_and_b32 s82, s82, 0xffffff                               // 00000000914C: 8652FF52 00FFFFFF
	s_cmp_lt_u32 s82, s66                                      // 000000009154: BF0A4252
	s_cselect_b32 s21, s36, s60                                // 000000009158: 85153C24
	s_mov_b64 exec, s[20:21]                                   // 00000000915C: BEFE0114
	buffer_store_dword v104, v6, s[8:11], 0 offen              // 000000009160: E0701000 80026806
	buffer_store_dword v106, v6, s[8:11], 0 offen offset:128   // 000000009168: E0701080 80026A06
	s_mov_b64 exec, s[36:37]                                   // 000000009170: BEFE0124
	v_mov_b32_e32 v6, v75                                      // 000000009174: 7E0C034B
	s_mov_b64 s[60:61], 0                                      // 000000009178: BEBC0180
	v_readlane_b32 s82, v3, 18                                 // 00000000917C: D2890052 00012503
	s_and_b32 s82, s82, 0xffffff                               // 000000009184: 8652FF52 00FFFFFF
	s_cmp_lt_u32 s82, s66                                      // 00000000918C: BF0A4252
	s_cselect_b32 s20, s36, s60                                // 000000009190: 85143C24
	v_readlane_b32 s82, v3, 19                                 // 000000009194: D2890052 00012703
	s_and_b32 s82, s82, 0xffffff                               // 00000000919C: 8652FF52 00FFFFFF
	s_cmp_lt_u32 s82, s66                                      // 0000000091A4: BF0A4252
	s_cselect_b32 s21, s36, s60                                // 0000000091A8: 85153C24
	s_mov_b64 exec, s[20:21]                                   // 0000000091AC: BEFE0114
	buffer_store_dword v105, v6, s[8:11], 0 offen              // 0000000091B0: E0701000 80026906
	buffer_store_dword v107, v6, s[8:11], 0 offen offset:128   // 0000000091B8: E0701080 80026B06
	s_mov_b64 exec, s[36:37]                                   // 0000000091C0: BEFE0124
	v_mov_b32_e32 v6, v76                                      // 0000000091C4: 7E0C034C
	s_mov_b64 s[60:61], 0                                      // 0000000091C8: BEBC0180
	v_readlane_b32 s82, v3, 20                                 // 0000000091CC: D2890052 00012903
	s_and_b32 s82, s82, 0xffffff                               // 0000000091D4: 8652FF52 00FFFFFF
	s_cmp_lt_u32 s82, s66                                      // 0000000091DC: BF0A4252
	s_cselect_b32 s20, s36, s60                                // 0000000091E0: 85143C24
	v_readlane_b32 s82, v3, 21                                 // 0000000091E4: D2890052 00012B03
	s_and_b32 s82, s82, 0xffffff                               // 0000000091EC: 8652FF52 00FFFFFF
	s_cmp_lt_u32 s82, s66                                      // 0000000091F4: BF0A4252
	s_cselect_b32 s21, s36, s60                                // 0000000091F8: 85153C24
	s_mov_b64 exec, s[20:21]                                   // 0000000091FC: BEFE0114
	buffer_store_dword v108, v6, s[8:11], 0 offen              // 000000009200: E0701000 80026C06
	buffer_store_dword v110, v6, s[8:11], 0 offen offset:128   // 000000009208: E0701080 80026E06
	s_mov_b64 exec, s[36:37]                                   // 000000009210: BEFE0124
	v_mov_b32_e32 v6, v77                                      // 000000009214: 7E0C034D
	s_mov_b64 s[60:61], 0                                      // 000000009218: BEBC0180
	v_readlane_b32 s82, v3, 22                                 // 00000000921C: D2890052 00012D03
	s_and_b32 s82, s82, 0xffffff                               // 000000009224: 8652FF52 00FFFFFF
	s_cmp_lt_u32 s82, s66                                      // 00000000922C: BF0A4252
	s_cselect_b32 s20, s36, s60                                // 000000009230: 85143C24
	v_readlane_b32 s82, v3, 23                                 // 000000009234: D2890052 00012F03
	s_and_b32 s82, s82, 0xffffff                               // 00000000923C: 8652FF52 00FFFFFF
	s_cmp_lt_u32 s82, s66                                      // 000000009244: BF0A4252
	s_cselect_b32 s21, s36, s60                                // 000000009248: 85153C24
	s_mov_b64 exec, s[20:21]                                   // 00000000924C: BEFE0114
	buffer_store_dword v109, v6, s[8:11], 0 offen              // 000000009250: E0701000 80026D06
	buffer_store_dword v111, v6, s[8:11], 0 offen offset:128   // 000000009258: E0701080 80026F06
	s_mov_b64 exec, s[36:37]                                   // 000000009260: BEFE0124
	v_mov_b32_e32 v6, v78                                      // 000000009264: 7E0C034E
	s_mov_b64 s[60:61], 0                                      // 000000009268: BEBC0180
	v_readlane_b32 s82, v3, 24                                 // 00000000926C: D2890052 00013103
	s_and_b32 s82, s82, 0xffffff                               // 000000009274: 8652FF52 00FFFFFF
	s_cmp_lt_u32 s82, s66                                      // 00000000927C: BF0A4252
	s_cselect_b32 s20, s36, s60                                // 000000009280: 85143C24
	v_readlane_b32 s82, v3, 25                                 // 000000009284: D2890052 00013303
	s_and_b32 s82, s82, 0xffffff                               // 00000000928C: 8652FF52 00FFFFFF
	s_cmp_lt_u32 s82, s66                                      // 000000009294: BF0A4252
	s_cselect_b32 s21, s36, s60                                // 000000009298: 85153C24
	s_mov_b64 exec, s[20:21]                                   // 00000000929C: BEFE0114
	buffer_store_dword v112, v6, s[8:11], 0 offen              // 0000000092A0: E0701000 80027006
	buffer_store_dword v114, v6, s[8:11], 0 offen offset:128   // 0000000092A8: E0701080 80027206
	s_mov_b64 exec, s[36:37]                                   // 0000000092B0: BEFE0124
	v_mov_b32_e32 v6, v79                                      // 0000000092B4: 7E0C034F
	s_mov_b64 s[60:61], 0                                      // 0000000092B8: BEBC0180
	v_readlane_b32 s82, v3, 26                                 // 0000000092BC: D2890052 00013503
	s_and_b32 s82, s82, 0xffffff                               // 0000000092C4: 8652FF52 00FFFFFF
	s_cmp_lt_u32 s82, s66                                      // 0000000092CC: BF0A4252
	s_cselect_b32 s20, s36, s60                                // 0000000092D0: 85143C24
	v_readlane_b32 s82, v3, 27                                 // 0000000092D4: D2890052 00013703
	s_and_b32 s82, s82, 0xffffff                               // 0000000092DC: 8652FF52 00FFFFFF
	s_cmp_lt_u32 s82, s66                                      // 0000000092E4: BF0A4252
	s_cselect_b32 s21, s36, s60                                // 0000000092E8: 85153C24
	s_mov_b64 exec, s[20:21]                                   // 0000000092EC: BEFE0114
	buffer_store_dword v113, v6, s[8:11], 0 offen              // 0000000092F0: E0701000 80027106
	buffer_store_dword v115, v6, s[8:11], 0 offen offset:128   // 0000000092F8: E0701080 80027306
	s_mov_b64 exec, s[36:37]                                   // 000000009300: BEFE0124
	v_mov_b32_e32 v6, v80                                      // 000000009304: 7E0C0350
	s_mov_b64 s[60:61], 0                                      // 000000009308: BEBC0180
	v_readlane_b32 s82, v3, 28                                 // 00000000930C: D2890052 00013903
	s_and_b32 s82, s82, 0xffffff                               // 000000009314: 8652FF52 00FFFFFF
	s_cmp_lt_u32 s82, s66                                      // 00000000931C: BF0A4252
	s_cselect_b32 s20, s36, s60                                // 000000009320: 85143C24
	v_readlane_b32 s82, v3, 29                                 // 000000009324: D2890052 00013B03
	s_and_b32 s82, s82, 0xffffff                               // 00000000932C: 8652FF52 00FFFFFF
	s_cmp_lt_u32 s82, s66                                      // 000000009334: BF0A4252
	s_cselect_b32 s21, s36, s60                                // 000000009338: 85153C24
	s_mov_b64 exec, s[20:21]                                   // 00000000933C: BEFE0114
	buffer_store_dword v116, v6, s[8:11], 0 offen              // 000000009340: E0701000 80027406
	buffer_store_dword v118, v6, s[8:11], 0 offen offset:128   // 000000009348: E0701080 80027606
	s_mov_b64 exec, s[36:37]                                   // 000000009350: BEFE0124
	v_mov_b32_e32 v6, v81                                      // 000000009354: 7E0C0351
	s_mov_b64 s[60:61], 0                                      // 000000009358: BEBC0180
	v_readlane_b32 s82, v3, 30                                 // 00000000935C: D2890052 00013D03
	s_and_b32 s82, s82, 0xffffff                               // 000000009364: 8652FF52 00FFFFFF
	s_cmp_lt_u32 s82, s66                                      // 00000000936C: BF0A4252
	s_cselect_b32 s20, s36, s60                                // 000000009370: 85143C24
	v_readlane_b32 s82, v3, 31                                 // 000000009374: D2890052 00013F03
	s_and_b32 s82, s82, 0xffffff                               // 00000000937C: 8652FF52 00FFFFFF
	s_cmp_lt_u32 s82, s66                                      // 000000009384: BF0A4252
	s_cselect_b32 s21, s36, s60                                // 000000009388: 85153C24
	s_mov_b64 exec, s[20:21]                                   // 00000000938C: BEFE0114
	buffer_store_dword v117, v6, s[8:11], 0 offen              // 000000009390: E0701000 80027506
	buffer_store_dword v119, v6, s[8:11], 0 offen offset:128   // 000000009398: E0701080 80027706
	s_mov_b64 exec, s[36:37]                                   // 0000000093A0: BEFE0124
	v_mov_b32_e32 v6, v82                                      // 0000000093A4: 7E0C0352
	s_mov_b64 s[60:61], 0                                      // 0000000093A8: BEBC0180
	v_readlane_b32 s82, v3, 32                                 // 0000000093AC: D2890052 00014103
	s_and_b32 s82, s82, 0xffffff                               // 0000000093B4: 8652FF52 00FFFFFF
	s_cmp_lt_u32 s82, s66                                      // 0000000093BC: BF0A4252
	s_cselect_b32 s20, s36, s60                                // 0000000093C0: 85143C24
	v_readlane_b32 s82, v3, 33                                 // 0000000093C4: D2890052 00014303
	s_and_b32 s82, s82, 0xffffff                               // 0000000093CC: 8652FF52 00FFFFFF
	s_cmp_lt_u32 s82, s66                                      // 0000000093D4: BF0A4252
	s_cselect_b32 s21, s36, s60                                // 0000000093D8: 85153C24
	s_mov_b64 exec, s[20:21]                                   // 0000000093DC: BEFE0114
	buffer_store_dword v120, v6, s[8:11], 0 offen              // 0000000093E0: E0701000 80027806
	buffer_store_dword v122, v6, s[8:11], 0 offen offset:128   // 0000000093E8: E0701080 80027A06
	s_mov_b64 exec, s[36:37]                                   // 0000000093F0: BEFE0124
	v_mov_b32_e32 v6, v83                                      // 0000000093F4: 7E0C0353
	s_mov_b64 s[60:61], 0                                      // 0000000093F8: BEBC0180
	v_readlane_b32 s82, v3, 34                                 // 0000000093FC: D2890052 00014503
	s_and_b32 s82, s82, 0xffffff                               // 000000009404: 8652FF52 00FFFFFF
	s_cmp_lt_u32 s82, s66                                      // 00000000940C: BF0A4252
	s_cselect_b32 s20, s36, s60                                // 000000009410: 85143C24
	v_readlane_b32 s82, v3, 35                                 // 000000009414: D2890052 00014703
	s_and_b32 s82, s82, 0xffffff                               // 00000000941C: 8652FF52 00FFFFFF
	s_cmp_lt_u32 s82, s66                                      // 000000009424: BF0A4252
	s_cselect_b32 s21, s36, s60                                // 000000009428: 85153C24
	s_mov_b64 exec, s[20:21]                                   // 00000000942C: BEFE0114
	buffer_store_dword v121, v6, s[8:11], 0 offen              // 000000009430: E0701000 80027906
	buffer_store_dword v123, v6, s[8:11], 0 offen offset:128   // 000000009438: E0701080 80027B06
	s_mov_b64 exec, s[36:37]                                   // 000000009440: BEFE0124
	s_branch label_432A                                        // 000000009444: BF822895

0000000000009448 <label_1A92>:
	ds_write_b64 v20, v[88:89]                                 // 000000009448: D89A0000 00005814
	ds_write_b64 v20, v[92:93] offset:4352                     // 000000009450: D89A1100 00005C14
	ds_write_b64 v20, v[96:97] offset:8704                     // 000000009458: D89A2200 00006014
	ds_write_b64 v20, v[100:101] offset:13056                  // 000000009460: D89A3300 00006414
	ds_write_b64 v20, v[104:105] offset:17408                  // 000000009468: D89A4400 00006814
	ds_write_b64 v20, v[108:109] offset:21760                  // 000000009470: D89A5500 00006C14
	ds_write_b64 v20, v[112:113] offset:26112                  // 000000009478: D89A6600 00007014
	ds_write_b64 v20, v[116:117] offset:30464                  // 000000009480: D89A7700 00007414
	ds_write_b64 v20, v[120:121] offset:34816                  // 000000009488: D89A8800 00007814
	ds_write_b64 v20, v[124:125] offset:2176                   // 000000009490: D89A0880 00007C14
	ds_write_b64 v20, v[128:129] offset:6528                   // 000000009498: D89A1980 00008014
	ds_write_b64 v20, v[132:133] offset:10880                  // 0000000094A0: D89A2A80 00008414
	ds_write_b64 v20, v[136:137] offset:15232                  // 0000000094A8: D89A3B80 00008814
	ds_write_b64 v20, v[140:141] offset:19584                  // 0000000094B0: D89A4C80 00008C14
	ds_write_b64 v20, v[144:145] offset:23936                  // 0000000094B8: D89A5D80 00009014
	ds_write_b64 v20, v[148:149] offset:28288                  // 0000000094C0: D89A6E80 00009414
	ds_write_b64 v20, v[152:153] offset:32640                  // 0000000094C8: D89A7F80 00009814
	ds_write_b64 v20, v[156:157] offset:36992                  // 0000000094D0: D89A9080 00009C14
	v_lshrrev_b32_e32 v4, 5, v0                                // 0000000094D8: 20080085
	v_xor_b32_e32 v5, 1, v4                                    // 0000000094DC: 2A0A0881
	s_mul_i32 s60, s65, 2                                      // 0000000094E0: 923C8241
	s_cmp_eq_u32 s88, 0                                        // 0000000094E4: BF068058
	s_cselect_b32 s61, 1, 4                                    // 0000000094E8: 853D8481
	s_mul_i32 s60, s61, s60                                    // 0000000094EC: 923C3C3D
	v_readlane_b32 s82, v3, 0                                  // 0000000094F0: D2890052 00010103
	s_lshr_b32 s61, s82, 24                                    // 0000000094F8: 8F3D9852
	s_and_b32 s82, s82, 0xffffff                               // 0000000094FC: 8652FF52 00FFFFFF
	s_mul_i32 s82, s82, s71                                    // 000000009504: 92524752
	s_mul_i32 s61, s60, s61                                    // 000000009508: 923D3D3C
	s_add_u32 s82, s82, s61                                    // 00000000950C: 80523D52
	v_mul_lo_u32 v6, v5, s82                                   // 000000009510: D2850006 0000A505
	v_readlane_b32 s82, v3, 1                                  // 000000009518: D2890052 00010303
	s_lshr_b32 s61, s82, 24                                    // 000000009520: 8F3D9852
	s_and_b32 s82, s82, 0xffffff                               // 000000009524: 8652FF52 00FFFFFF
	s_mul_i32 s82, s82, s71                                    // 00000000952C: 92524752
	s_mul_i32 s61, s60, s61                                    // 000000009530: 923D3D3C
	s_add_u32 s82, s82, s61                                    // 000000009534: 80523D52
	v_mul_lo_u32 v7, v4, s82                                   // 000000009538: D2850007 0000A504
	v_add_u32_e32 v66, v6, v7                                  // 000000009540: 68840F06
	v_readlane_b32 s82, v3, 2                                  // 000000009544: D2890052 00010503
	s_lshr_b32 s61, s82, 24                                    // 00000000954C: 8F3D9852
	s_and_b32 s82, s82, 0xffffff                               // 000000009550: 8652FF52 00FFFFFF
	s_mul_i32 s82, s82, s71                                    // 000000009558: 92524752
	s_mul_i32 s61, s60, s61                                    // 00000000955C: 923D3D3C
	s_add_u32 s82, s82, s61                                    // 000000009560: 80523D52
	v_mul_lo_u32 v6, v5, s82                                   // 000000009564: D2850006 0000A505
	v_readlane_b32 s82, v3, 3                                  // 00000000956C: D2890052 00010703
	s_lshr_b32 s61, s82, 24                                    // 000000009574: 8F3D9852
	s_and_b32 s82, s82, 0xffffff                               // 000000009578: 8652FF52 00FFFFFF
	s_mul_i32 s82, s82, s71                                    // 000000009580: 92524752
	s_mul_i32 s61, s60, s61                                    // 000000009584: 923D3D3C
	s_add_u32 s82, s82, s61                                    // 000000009588: 80523D52
	v_mul_lo_u32 v7, v4, s82                                   // 00000000958C: D2850007 0000A504
	v_add_u32_e32 v67, v6, v7                                  // 000000009594: 68860F06
	v_readlane_b32 s82, v3, 4                                  // 000000009598: D2890052 00010903
	s_lshr_b32 s61, s82, 24                                    // 0000000095A0: 8F3D9852
	s_and_b32 s82, s82, 0xffffff                               // 0000000095A4: 8652FF52 00FFFFFF
	s_mul_i32 s82, s82, s71                                    // 0000000095AC: 92524752
	s_mul_i32 s61, s60, s61                                    // 0000000095B0: 923D3D3C
	s_add_u32 s82, s82, s61                                    // 0000000095B4: 80523D52
	v_mul_lo_u32 v6, v5, s82                                   // 0000000095B8: D2850006 0000A505
	v_readlane_b32 s82, v3, 5                                  // 0000000095C0: D2890052 00010B03
	s_lshr_b32 s61, s82, 24                                    // 0000000095C8: 8F3D9852
	s_and_b32 s82, s82, 0xffffff                               // 0000000095CC: 8652FF52 00FFFFFF
	s_mul_i32 s82, s82, s71                                    // 0000000095D4: 92524752
	s_mul_i32 s61, s60, s61                                    // 0000000095D8: 923D3D3C
	s_add_u32 s82, s82, s61                                    // 0000000095DC: 80523D52
	v_mul_lo_u32 v7, v4, s82                                   // 0000000095E0: D2850007 0000A504
	v_add_u32_e32 v68, v6, v7                                  // 0000000095E8: 68880F06
	v_readlane_b32 s82, v3, 6                                  // 0000000095EC: D2890052 00010D03
	s_lshr_b32 s61, s82, 24                                    // 0000000095F4: 8F3D9852
	s_and_b32 s82, s82, 0xffffff                               // 0000000095F8: 8652FF52 00FFFFFF
	s_mul_i32 s82, s82, s71                                    // 000000009600: 92524752
	s_mul_i32 s61, s60, s61                                    // 000000009604: 923D3D3C
	s_add_u32 s82, s82, s61                                    // 000000009608: 80523D52
	v_mul_lo_u32 v6, v5, s82                                   // 00000000960C: D2850006 0000A505
	v_readlane_b32 s82, v3, 7                                  // 000000009614: D2890052 00010F03
	s_lshr_b32 s61, s82, 24                                    // 00000000961C: 8F3D9852
	s_and_b32 s82, s82, 0xffffff                               // 000000009620: 8652FF52 00FFFFFF
	s_mul_i32 s82, s82, s71                                    // 000000009628: 92524752
	s_mul_i32 s61, s60, s61                                    // 00000000962C: 923D3D3C
	s_add_u32 s82, s82, s61                                    // 000000009630: 80523D52
	v_mul_lo_u32 v7, v4, s82                                   // 000000009634: D2850007 0000A504
	v_add_u32_e32 v69, v6, v7                                  // 00000000963C: 688A0F06
	v_readlane_b32 s82, v3, 8                                  // 000000009640: D2890052 00011103
	s_lshr_b32 s61, s82, 24                                    // 000000009648: 8F3D9852
	s_and_b32 s82, s82, 0xffffff                               // 00000000964C: 8652FF52 00FFFFFF
	s_mul_i32 s82, s82, s71                                    // 000000009654: 92524752
	s_mul_i32 s61, s60, s61                                    // 000000009658: 923D3D3C
	s_add_u32 s82, s82, s61                                    // 00000000965C: 80523D52
	v_mul_lo_u32 v6, v5, s82                                   // 000000009660: D2850006 0000A505
	v_readlane_b32 s82, v3, 9                                  // 000000009668: D2890052 00011303
	s_lshr_b32 s61, s82, 24                                    // 000000009670: 8F3D9852
	s_and_b32 s82, s82, 0xffffff                               // 000000009674: 8652FF52 00FFFFFF
	s_mul_i32 s82, s82, s71                                    // 00000000967C: 92524752
	s_mul_i32 s61, s60, s61                                    // 000000009680: 923D3D3C
	s_add_u32 s82, s82, s61                                    // 000000009684: 80523D52
	v_mul_lo_u32 v7, v4, s82                                   // 000000009688: D2850007 0000A504
	v_add_u32_e32 v70, v6, v7                                  // 000000009690: 688C0F06
	v_readlane_b32 s82, v3, 10                                 // 000000009694: D2890052 00011503
	s_lshr_b32 s61, s82, 24                                    // 00000000969C: 8F3D9852
	s_and_b32 s82, s82, 0xffffff                               // 0000000096A0: 8652FF52 00FFFFFF
	s_mul_i32 s82, s82, s71                                    // 0000000096A8: 92524752
	s_mul_i32 s61, s60, s61                                    // 0000000096AC: 923D3D3C
	s_add_u32 s82, s82, s61                                    // 0000000096B0: 80523D52
	v_mul_lo_u32 v6, v5, s82                                   // 0000000096B4: D2850006 0000A505
	v_readlane_b32 s82, v3, 11                                 // 0000000096BC: D2890052 00011703
	s_lshr_b32 s61, s82, 24                                    // 0000000096C4: 8F3D9852
	s_and_b32 s82, s82, 0xffffff                               // 0000000096C8: 8652FF52 00FFFFFF
	s_mul_i32 s82, s82, s71                                    // 0000000096D0: 92524752
	s_mul_i32 s61, s60, s61                                    // 0000000096D4: 923D3D3C
	s_add_u32 s82, s82, s61                                    // 0000000096D8: 80523D52
	v_mul_lo_u32 v7, v4, s82                                   // 0000000096DC: D2850007 0000A504
	v_add_u32_e32 v71, v6, v7                                  // 0000000096E4: 688E0F06
	v_readlane_b32 s82, v3, 12                                 // 0000000096E8: D2890052 00011903
	s_lshr_b32 s61, s82, 24                                    // 0000000096F0: 8F3D9852
	s_and_b32 s82, s82, 0xffffff                               // 0000000096F4: 8652FF52 00FFFFFF
	s_mul_i32 s82, s82, s71                                    // 0000000096FC: 92524752
	s_mul_i32 s61, s60, s61                                    // 000000009700: 923D3D3C
	s_add_u32 s82, s82, s61                                    // 000000009704: 80523D52
	v_mul_lo_u32 v6, v5, s82                                   // 000000009708: D2850006 0000A505
	v_readlane_b32 s82, v3, 13                                 // 000000009710: D2890052 00011B03
	s_lshr_b32 s61, s82, 24                                    // 000000009718: 8F3D9852
	s_and_b32 s82, s82, 0xffffff                               // 00000000971C: 8652FF52 00FFFFFF
	s_mul_i32 s82, s82, s71                                    // 000000009724: 92524752
	s_mul_i32 s61, s60, s61                                    // 000000009728: 923D3D3C
	s_add_u32 s82, s82, s61                                    // 00000000972C: 80523D52
	v_mul_lo_u32 v7, v4, s82                                   // 000000009730: D2850007 0000A504
	v_add_u32_e32 v72, v6, v7                                  // 000000009738: 68900F06
	v_readlane_b32 s82, v3, 14                                 // 00000000973C: D2890052 00011D03
	s_lshr_b32 s61, s82, 24                                    // 000000009744: 8F3D9852
	s_and_b32 s82, s82, 0xffffff                               // 000000009748: 8652FF52 00FFFFFF
	s_mul_i32 s82, s82, s71                                    // 000000009750: 92524752
	s_mul_i32 s61, s60, s61                                    // 000000009754: 923D3D3C
	s_add_u32 s82, s82, s61                                    // 000000009758: 80523D52
	v_mul_lo_u32 v6, v5, s82                                   // 00000000975C: D2850006 0000A505
	v_readlane_b32 s82, v3, 15                                 // 000000009764: D2890052 00011F03
	s_lshr_b32 s61, s82, 24                                    // 00000000976C: 8F3D9852
	s_and_b32 s82, s82, 0xffffff                               // 000000009770: 8652FF52 00FFFFFF
	s_mul_i32 s82, s82, s71                                    // 000000009778: 92524752
	s_mul_i32 s61, s60, s61                                    // 00000000977C: 923D3D3C
	s_add_u32 s82, s82, s61                                    // 000000009780: 80523D52
	v_mul_lo_u32 v7, v4, s82                                   // 000000009784: D2850007 0000A504
	v_add_u32_e32 v73, v6, v7                                  // 00000000978C: 68920F06
	v_readlane_b32 s82, v3, 16                                 // 000000009790: D2890052 00012103
	s_lshr_b32 s61, s82, 24                                    // 000000009798: 8F3D9852
	s_and_b32 s82, s82, 0xffffff                               // 00000000979C: 8652FF52 00FFFFFF
	s_mul_i32 s82, s82, s71                                    // 0000000097A4: 92524752
	s_mul_i32 s61, s60, s61                                    // 0000000097A8: 923D3D3C
	s_add_u32 s82, s82, s61                                    // 0000000097AC: 80523D52
	v_mul_lo_u32 v6, v5, s82                                   // 0000000097B0: D2850006 0000A505
	v_readlane_b32 s82, v3, 17                                 // 0000000097B8: D2890052 00012303
	s_lshr_b32 s61, s82, 24                                    // 0000000097C0: 8F3D9852
	s_and_b32 s82, s82, 0xffffff                               // 0000000097C4: 8652FF52 00FFFFFF
	s_mul_i32 s82, s82, s71                                    // 0000000097CC: 92524752
	s_mul_i32 s61, s60, s61                                    // 0000000097D0: 923D3D3C
	s_add_u32 s82, s82, s61                                    // 0000000097D4: 80523D52
	v_mul_lo_u32 v7, v4, s82                                   // 0000000097D8: D2850007 0000A504
	v_add_u32_e32 v74, v6, v7                                  // 0000000097E0: 68940F06
	v_readlane_b32 s82, v3, 18                                 // 0000000097E4: D2890052 00012503
	s_lshr_b32 s61, s82, 24                                    // 0000000097EC: 8F3D9852
	s_and_b32 s82, s82, 0xffffff                               // 0000000097F0: 8652FF52 00FFFFFF
	s_mul_i32 s82, s82, s71                                    // 0000000097F8: 92524752
	s_mul_i32 s61, s60, s61                                    // 0000000097FC: 923D3D3C
	s_add_u32 s82, s82, s61                                    // 000000009800: 80523D52
	v_mul_lo_u32 v6, v5, s82                                   // 000000009804: D2850006 0000A505
	v_readlane_b32 s82, v3, 19                                 // 00000000980C: D2890052 00012703
	s_lshr_b32 s61, s82, 24                                    // 000000009814: 8F3D9852
	s_and_b32 s82, s82, 0xffffff                               // 000000009818: 8652FF52 00FFFFFF
	s_mul_i32 s82, s82, s71                                    // 000000009820: 92524752
	s_mul_i32 s61, s60, s61                                    // 000000009824: 923D3D3C
	s_add_u32 s82, s82, s61                                    // 000000009828: 80523D52
	v_mul_lo_u32 v7, v4, s82                                   // 00000000982C: D2850007 0000A504
	v_add_u32_e32 v75, v6, v7                                  // 000000009834: 68960F06
	v_readlane_b32 s82, v3, 20                                 // 000000009838: D2890052 00012903
	s_lshr_b32 s61, s82, 24                                    // 000000009840: 8F3D9852
	s_and_b32 s82, s82, 0xffffff                               // 000000009844: 8652FF52 00FFFFFF
	s_mul_i32 s82, s82, s71                                    // 00000000984C: 92524752
	s_mul_i32 s61, s60, s61                                    // 000000009850: 923D3D3C
	s_add_u32 s82, s82, s61                                    // 000000009854: 80523D52
	v_mul_lo_u32 v6, v5, s82                                   // 000000009858: D2850006 0000A505
	v_readlane_b32 s82, v3, 21                                 // 000000009860: D2890052 00012B03
	s_lshr_b32 s61, s82, 24                                    // 000000009868: 8F3D9852
	s_and_b32 s82, s82, 0xffffff                               // 00000000986C: 8652FF52 00FFFFFF
	s_mul_i32 s82, s82, s71                                    // 000000009874: 92524752
	s_mul_i32 s61, s60, s61                                    // 000000009878: 923D3D3C
	s_add_u32 s82, s82, s61                                    // 00000000987C: 80523D52
	v_mul_lo_u32 v7, v4, s82                                   // 000000009880: D2850007 0000A504
	v_add_u32_e32 v76, v6, v7                                  // 000000009888: 68980F06
	v_readlane_b32 s82, v3, 22                                 // 00000000988C: D2890052 00012D03
	s_lshr_b32 s61, s82, 24                                    // 000000009894: 8F3D9852
	s_and_b32 s82, s82, 0xffffff                               // 000000009898: 8652FF52 00FFFFFF
	s_mul_i32 s82, s82, s71                                    // 0000000098A0: 92524752
	s_mul_i32 s61, s60, s61                                    // 0000000098A4: 923D3D3C
	s_add_u32 s82, s82, s61                                    // 0000000098A8: 80523D52
	v_mul_lo_u32 v6, v5, s82                                   // 0000000098AC: D2850006 0000A505
	v_readlane_b32 s82, v3, 23                                 // 0000000098B4: D2890052 00012F03
	s_lshr_b32 s61, s82, 24                                    // 0000000098BC: 8F3D9852
	s_and_b32 s82, s82, 0xffffff                               // 0000000098C0: 8652FF52 00FFFFFF
	s_mul_i32 s82, s82, s71                                    // 0000000098C8: 92524752
	s_mul_i32 s61, s60, s61                                    // 0000000098CC: 923D3D3C
	s_add_u32 s82, s82, s61                                    // 0000000098D0: 80523D52
	v_mul_lo_u32 v7, v4, s82                                   // 0000000098D4: D2850007 0000A504
	v_add_u32_e32 v77, v6, v7                                  // 0000000098DC: 689A0F06
	v_readlane_b32 s82, v3, 24                                 // 0000000098E0: D2890052 00013103
	s_lshr_b32 s61, s82, 24                                    // 0000000098E8: 8F3D9852
	s_and_b32 s82, s82, 0xffffff                               // 0000000098EC: 8652FF52 00FFFFFF
	s_mul_i32 s82, s82, s71                                    // 0000000098F4: 92524752
	s_mul_i32 s61, s60, s61                                    // 0000000098F8: 923D3D3C
	s_add_u32 s82, s82, s61                                    // 0000000098FC: 80523D52
	v_mul_lo_u32 v6, v5, s82                                   // 000000009900: D2850006 0000A505
	v_readlane_b32 s82, v3, 25                                 // 000000009908: D2890052 00013303
	s_lshr_b32 s61, s82, 24                                    // 000000009910: 8F3D9852
	s_and_b32 s82, s82, 0xffffff                               // 000000009914: 8652FF52 00FFFFFF
	s_mul_i32 s82, s82, s71                                    // 00000000991C: 92524752
	s_mul_i32 s61, s60, s61                                    // 000000009920: 923D3D3C
	s_add_u32 s82, s82, s61                                    // 000000009924: 80523D52
	v_mul_lo_u32 v7, v4, s82                                   // 000000009928: D2850007 0000A504
	v_add_u32_e32 v78, v6, v7                                  // 000000009930: 689C0F06
	v_readlane_b32 s82, v3, 26                                 // 000000009934: D2890052 00013503
	s_lshr_b32 s61, s82, 24                                    // 00000000993C: 8F3D9852
	s_and_b32 s82, s82, 0xffffff                               // 000000009940: 8652FF52 00FFFFFF
	s_mul_i32 s82, s82, s71                                    // 000000009948: 92524752
	s_mul_i32 s61, s60, s61                                    // 00000000994C: 923D3D3C
	s_add_u32 s82, s82, s61                                    // 000000009950: 80523D52
	v_mul_lo_u32 v6, v5, s82                                   // 000000009954: D2850006 0000A505
	v_readlane_b32 s82, v3, 27                                 // 00000000995C: D2890052 00013703
	s_lshr_b32 s61, s82, 24                                    // 000000009964: 8F3D9852
	s_and_b32 s82, s82, 0xffffff                               // 000000009968: 8652FF52 00FFFFFF
	s_mul_i32 s82, s82, s71                                    // 000000009970: 92524752
	s_mul_i32 s61, s60, s61                                    // 000000009974: 923D3D3C
	s_add_u32 s82, s82, s61                                    // 000000009978: 80523D52
	v_mul_lo_u32 v7, v4, s82                                   // 00000000997C: D2850007 0000A504
	v_add_u32_e32 v79, v6, v7                                  // 000000009984: 689E0F06
	v_readlane_b32 s82, v3, 28                                 // 000000009988: D2890052 00013903
	s_lshr_b32 s61, s82, 24                                    // 000000009990: 8F3D9852
	s_and_b32 s82, s82, 0xffffff                               // 000000009994: 8652FF52 00FFFFFF
	s_mul_i32 s82, s82, s71                                    // 00000000999C: 92524752
	s_mul_i32 s61, s60, s61                                    // 0000000099A0: 923D3D3C
	s_add_u32 s82, s82, s61                                    // 0000000099A4: 80523D52
	v_mul_lo_u32 v6, v5, s82                                   // 0000000099A8: D2850006 0000A505
	v_readlane_b32 s82, v3, 29                                 // 0000000099B0: D2890052 00013B03
	s_lshr_b32 s61, s82, 24                                    // 0000000099B8: 8F3D9852
	s_and_b32 s82, s82, 0xffffff                               // 0000000099BC: 8652FF52 00FFFFFF
	s_mul_i32 s82, s82, s71                                    // 0000000099C4: 92524752
	s_mul_i32 s61, s60, s61                                    // 0000000099C8: 923D3D3C
	s_add_u32 s82, s82, s61                                    // 0000000099CC: 80523D52
	v_mul_lo_u32 v7, v4, s82                                   // 0000000099D0: D2850007 0000A504
	v_add_u32_e32 v80, v6, v7                                  // 0000000099D8: 68A00F06
	v_readlane_b32 s82, v3, 30                                 // 0000000099DC: D2890052 00013D03
	s_lshr_b32 s61, s82, 24                                    // 0000000099E4: 8F3D9852
	s_and_b32 s82, s82, 0xffffff                               // 0000000099E8: 8652FF52 00FFFFFF
	s_mul_i32 s82, s82, s71                                    // 0000000099F0: 92524752
	s_mul_i32 s61, s60, s61                                    // 0000000099F4: 923D3D3C
	s_add_u32 s82, s82, s61                                    // 0000000099F8: 80523D52
	v_mul_lo_u32 v6, v5, s82                                   // 0000000099FC: D2850006 0000A505
	v_readlane_b32 s82, v3, 31                                 // 000000009A04: D2890052 00013F03
	s_lshr_b32 s61, s82, 24                                    // 000000009A0C: 8F3D9852
	s_and_b32 s82, s82, 0xffffff                               // 000000009A10: 8652FF52 00FFFFFF
	s_mul_i32 s82, s82, s71                                    // 000000009A18: 92524752
	s_mul_i32 s61, s60, s61                                    // 000000009A1C: 923D3D3C
	s_add_u32 s82, s82, s61                                    // 000000009A20: 80523D52
	v_mul_lo_u32 v7, v4, s82                                   // 000000009A24: D2850007 0000A504
	v_add_u32_e32 v81, v6, v7                                  // 000000009A2C: 68A20F06
	v_readlane_b32 s82, v3, 32                                 // 000000009A30: D2890052 00014103
	s_lshr_b32 s61, s82, 24                                    // 000000009A38: 8F3D9852
	s_and_b32 s82, s82, 0xffffff                               // 000000009A3C: 8652FF52 00FFFFFF
	s_mul_i32 s82, s82, s71                                    // 000000009A44: 92524752
	s_mul_i32 s61, s60, s61                                    // 000000009A48: 923D3D3C
	s_add_u32 s82, s82, s61                                    // 000000009A4C: 80523D52
	v_mul_lo_u32 v6, v5, s82                                   // 000000009A50: D2850006 0000A505
	v_readlane_b32 s82, v3, 33                                 // 000000009A58: D2890052 00014303
	s_lshr_b32 s61, s82, 24                                    // 000000009A60: 8F3D9852
	s_and_b32 s82, s82, 0xffffff                               // 000000009A64: 8652FF52 00FFFFFF
	s_mul_i32 s82, s82, s71                                    // 000000009A6C: 92524752
	s_mul_i32 s61, s60, s61                                    // 000000009A70: 923D3D3C
	s_add_u32 s82, s82, s61                                    // 000000009A74: 80523D52
	v_mul_lo_u32 v7, v4, s82                                   // 000000009A78: D2850007 0000A504
	v_add_u32_e32 v82, v6, v7                                  // 000000009A80: 68A40F06
	v_readlane_b32 s82, v3, 34                                 // 000000009A84: D2890052 00014503
	s_lshr_b32 s61, s82, 24                                    // 000000009A8C: 8F3D9852
	s_and_b32 s82, s82, 0xffffff                               // 000000009A90: 8652FF52 00FFFFFF
	s_mul_i32 s82, s82, s71                                    // 000000009A98: 92524752
	s_mul_i32 s61, s60, s61                                    // 000000009A9C: 923D3D3C
	s_add_u32 s82, s82, s61                                    // 000000009AA0: 80523D52
	v_mul_lo_u32 v6, v5, s82                                   // 000000009AA4: D2850006 0000A505
	v_readlane_b32 s82, v3, 35                                 // 000000009AAC: D2890052 00014703
	s_lshr_b32 s61, s82, 24                                    // 000000009AB4: 8F3D9852
	s_and_b32 s82, s82, 0xffffff                               // 000000009AB8: 8652FF52 00FFFFFF
	s_mul_i32 s82, s82, s71                                    // 000000009AC0: 92524752
	s_mul_i32 s61, s60, s61                                    // 000000009AC4: 923D3D3C
	s_add_u32 s82, s82, s61                                    // 000000009AC8: 80523D52
	v_mul_lo_u32 v7, v4, s82                                   // 000000009ACC: D2850007 0000A504
	v_add_u32_e32 v83, v6, v7                                  // 000000009AD4: 68A60F06
	v_and_b32_e32 v4, 31, v0                                   // 000000009AD8: 2608009F
	v_lshrrev_b32_e32 v4, 1, v4                                // 000000009ADC: 20080881
	s_cmp_eq_u32 s88, 0                                        // 000000009AE0: BF068058
	s_cselect_b32 s61, 2, 4                                    // 000000009AE4: 853D8482
	v_mul_lo_u32 v4, v4, s61                                   // 000000009AE8: D2850004 00007B04
	v_and_b32_e64 v5, v0, 1                                    // 000000009AF0: D1130005 00010300
	v_add_u32_e32 v4, v4, v5                                   // 000000009AF8: 68080B04
	v_lshlrev_b32_e32 v4, 2, v4                                // 000000009AFC: 24080882
	v_add_u32_e32 v66, v66, v4                                 // 000000009B00: 68840942
	v_add_u32_e32 v67, v67, v4                                 // 000000009B04: 68860943
	v_add_u32_e32 v68, v68, v4                                 // 000000009B08: 68880944
	v_add_u32_e32 v69, v69, v4                                 // 000000009B0C: 688A0945
	v_add_u32_e32 v70, v70, v4                                 // 000000009B10: 688C0946
	v_add_u32_e32 v71, v71, v4                                 // 000000009B14: 688E0947
	v_add_u32_e32 v72, v72, v4                                 // 000000009B18: 68900948
	v_add_u32_e32 v73, v73, v4                                 // 000000009B1C: 68920949
	v_add_u32_e32 v74, v74, v4                                 // 000000009B20: 6894094A
	v_add_u32_e32 v75, v75, v4                                 // 000000009B24: 6896094B
	v_add_u32_e32 v76, v76, v4                                 // 000000009B28: 6898094C
	v_add_u32_e32 v77, v77, v4                                 // 000000009B2C: 689A094D
	v_add_u32_e32 v78, v78, v4                                 // 000000009B30: 689C094E
	v_add_u32_e32 v79, v79, v4                                 // 000000009B34: 689E094F
	v_add_u32_e32 v80, v80, v4                                 // 000000009B38: 68A00950
	v_add_u32_e32 v81, v81, v4                                 // 000000009B3C: 68A20951
	v_add_u32_e32 v82, v82, v4                                 // 000000009B40: 68A40952
	v_add_u32_e32 v83, v83, v4                                 // 000000009B44: 68A60953
	s_waitcnt lgkmcnt(0)                                       // 000000009B48: BF8CC07F
	s_barrier                                                  // 000000009B4C: BF8A0000
	ds_read_b32 v88, v21                                       // 000000009B50: D86C0000 58000015
	ds_read_b32 v89, v21 offset:64                             // 000000009B58: D86C0040 59000015
	ds_read_b32 v92, v21 offset:2176                           // 000000009B60: D86C0880 5C000015
	ds_read_b32 v93, v21 offset:2240                           // 000000009B68: D86C08C0 5D000015
	ds_read_b32 v96, v21 offset:4352                           // 000000009B70: D86C1100 60000015
	ds_read_b32 v97, v21 offset:4416                           // 000000009B78: D86C1140 61000015
	ds_read_b32 v100, v21 offset:6528                          // 000000009B80: D86C1980 64000015
	ds_read_b32 v101, v21 offset:6592                          // 000000009B88: D86C19C0 65000015
	ds_read_b32 v104, v21 offset:8704                          // 000000009B90: D86C2200 68000015
	ds_read_b32 v105, v21 offset:8768                          // 000000009B98: D86C2240 69000015
	ds_read_b32 v108, v21 offset:10880                         // 000000009BA0: D86C2A80 6C000015
	ds_read_b32 v109, v21 offset:10944                         // 000000009BA8: D86C2AC0 6D000015
	ds_read_b32 v112, v21 offset:13056                         // 000000009BB0: D86C3300 70000015
	ds_read_b32 v113, v21 offset:13120                         // 000000009BB8: D86C3340 71000015
	ds_read_b32 v116, v21 offset:15232                         // 000000009BC0: D86C3B80 74000015
	ds_read_b32 v117, v21 offset:15296                         // 000000009BC8: D86C3BC0 75000015
	ds_read_b32 v120, v21 offset:17408                         // 000000009BD0: D86C4400 78000015
	ds_read_b32 v121, v21 offset:17472                         // 000000009BD8: D86C4440 79000015
	ds_read_b32 v124, v21 offset:19584                         // 000000009BE0: D86C4C80 7C000015
	ds_read_b32 v125, v21 offset:19648                         // 000000009BE8: D86C4CC0 7D000015
	ds_read_b32 v128, v21 offset:21760                         // 000000009BF0: D86C5500 80000015
	ds_read_b32 v129, v21 offset:21824                         // 000000009BF8: D86C5540 81000015
	ds_read_b32 v132, v21 offset:23936                         // 000000009C00: D86C5D80 84000015
	ds_read_b32 v133, v21 offset:24000                         // 000000009C08: D86C5DC0 85000015
	ds_read_b32 v136, v21 offset:26112                         // 000000009C10: D86C6600 88000015
	ds_read_b32 v137, v21 offset:26176                         // 000000009C18: D86C6640 89000015
	ds_read_b32 v140, v21 offset:28288                         // 000000009C20: D86C6E80 8C000015
	ds_read_b32 v141, v21 offset:28352                         // 000000009C28: D86C6EC0 8D000015
	ds_read_b32 v144, v21 offset:30464                         // 000000009C30: D86C7700 90000015
	ds_read_b32 v145, v21 offset:30528                         // 000000009C38: D86C7740 91000015
	ds_read_b32 v148, v21 offset:32640                         // 000000009C40: D86C7F80 94000015
	ds_read_b32 v149, v21 offset:32704                         // 000000009C48: D86C7FC0 95000015
	ds_read_b32 v152, v21 offset:34816                         // 000000009C50: D86C8800 98000015
	ds_read_b32 v153, v21 offset:34880                         // 000000009C58: D86C8840 99000015
	ds_read_b32 v156, v21 offset:36992                         // 000000009C60: D86C9080 9C000015
	ds_read_b32 v157, v21 offset:37056                         // 000000009C68: D86C90C0 9D000015
	s_waitcnt lgkmcnt(0)                                       // 000000009C70: BF8CC07F
	s_mov_b32 s36, -1                                          // 000000009C74: BEA400C1
	s_mov_b32 s37, -1                                          // 000000009C78: BEA500C1
	v_mov_b32_e32 v7, 0                                        // 000000009C7C: 7E0E0280
	s_mov_b64 exec, s[36:37]                                   // 000000009C80: BEFE0124
	v_mov_b32_e32 v6, v66                                      // 000000009C84: 7E0C0342
	s_mov_b64 s[60:61], 0                                      // 000000009C88: BEBC0180
	v_readlane_b32 s82, v3, 0                                  // 000000009C8C: D2890052 00010103
	s_and_b32 s82, s82, 0xffffff                               // 000000009C94: 8652FF52 00FFFFFF
	s_cmp_lt_u32 s82, s66                                      // 000000009C9C: BF0A4252
	s_cselect_b32 s20, s36, s60                                // 000000009CA0: 85143C24
	v_readlane_b32 s82, v3, 1                                  // 000000009CA4: D2890052 00010303
	s_and_b32 s82, s82, 0xffffff                               // 000000009CAC: 8652FF52 00FFFFFF
	s_cmp_lt_u32 s82, s66                                      // 000000009CB4: BF0A4252
	s_cselect_b32 s21, s36, s60                                // 000000009CB8: 85153C24
	s_mov_b64 exec, s[20:21]                                   // 000000009CBC: BEFE0114
	global_atomic_add_f32 v6, v88, s[8:9]                      // 000000009CC0: DD348000 00085806
	global_atomic_add_f32 v6, v92, s[8:9] offset:256           // 000000009CC8: DD348100 00085C06
	s_mov_b64 exec, s[36:37]                                   // 000000009CD0: BEFE0124
	v_mov_b32_e32 v6, v67                                      // 000000009CD4: 7E0C0343
	s_mov_b64 s[60:61], 0                                      // 000000009CD8: BEBC0180
	v_readlane_b32 s82, v3, 2                                  // 000000009CDC: D2890052 00010503
	s_and_b32 s82, s82, 0xffffff                               // 000000009CE4: 8652FF52 00FFFFFF
	s_cmp_lt_u32 s82, s66                                      // 000000009CEC: BF0A4252
	s_cselect_b32 s20, s36, s60                                // 000000009CF0: 85143C24
	v_readlane_b32 s82, v3, 3                                  // 000000009CF4: D2890052 00010703
	s_and_b32 s82, s82, 0xffffff                               // 000000009CFC: 8652FF52 00FFFFFF
	s_cmp_lt_u32 s82, s66                                      // 000000009D04: BF0A4252
	s_cselect_b32 s21, s36, s60                                // 000000009D08: 85153C24
	s_mov_b64 exec, s[20:21]                                   // 000000009D0C: BEFE0114
	global_atomic_add_f32 v6, v89, s[8:9]                      // 000000009D10: DD348000 00085906
	global_atomic_add_f32 v6, v93, s[8:9] offset:256           // 000000009D18: DD348100 00085D06
	s_mov_b64 exec, s[36:37]                                   // 000000009D20: BEFE0124
	v_mov_b32_e32 v6, v68                                      // 000000009D24: 7E0C0344
	s_mov_b64 s[60:61], 0                                      // 000000009D28: BEBC0180
	v_readlane_b32 s82, v3, 4                                  // 000000009D2C: D2890052 00010903
	s_and_b32 s82, s82, 0xffffff                               // 000000009D34: 8652FF52 00FFFFFF
	s_cmp_lt_u32 s82, s66                                      // 000000009D3C: BF0A4252
	s_cselect_b32 s20, s36, s60                                // 000000009D40: 85143C24
	v_readlane_b32 s82, v3, 5                                  // 000000009D44: D2890052 00010B03
	s_and_b32 s82, s82, 0xffffff                               // 000000009D4C: 8652FF52 00FFFFFF
	s_cmp_lt_u32 s82, s66                                      // 000000009D54: BF0A4252
	s_cselect_b32 s21, s36, s60                                // 000000009D58: 85153C24
	s_mov_b64 exec, s[20:21]                                   // 000000009D5C: BEFE0114
	global_atomic_add_f32 v6, v96, s[8:9]                      // 000000009D60: DD348000 00086006
	global_atomic_add_f32 v6, v100, s[8:9] offset:256          // 000000009D68: DD348100 00086406
	s_mov_b64 exec, s[36:37]                                   // 000000009D70: BEFE0124
	v_mov_b32_e32 v6, v69                                      // 000000009D74: 7E0C0345
	s_mov_b64 s[60:61], 0                                      // 000000009D78: BEBC0180
	v_readlane_b32 s82, v3, 6                                  // 000000009D7C: D2890052 00010D03
	s_and_b32 s82, s82, 0xffffff                               // 000000009D84: 8652FF52 00FFFFFF
	s_cmp_lt_u32 s82, s66                                      // 000000009D8C: BF0A4252
	s_cselect_b32 s20, s36, s60                                // 000000009D90: 85143C24
	v_readlane_b32 s82, v3, 7                                  // 000000009D94: D2890052 00010F03
	s_and_b32 s82, s82, 0xffffff                               // 000000009D9C: 8652FF52 00FFFFFF
	s_cmp_lt_u32 s82, s66                                      // 000000009DA4: BF0A4252
	s_cselect_b32 s21, s36, s60                                // 000000009DA8: 85153C24
	s_mov_b64 exec, s[20:21]                                   // 000000009DAC: BEFE0114
	global_atomic_add_f32 v6, v97, s[8:9]                      // 000000009DB0: DD348000 00086106
	global_atomic_add_f32 v6, v101, s[8:9] offset:256          // 000000009DB8: DD348100 00086506
	s_mov_b64 exec, s[36:37]                                   // 000000009DC0: BEFE0124
	v_mov_b32_e32 v6, v70                                      // 000000009DC4: 7E0C0346
	s_mov_b64 s[60:61], 0                                      // 000000009DC8: BEBC0180
	v_readlane_b32 s82, v3, 8                                  // 000000009DCC: D2890052 00011103
	s_and_b32 s82, s82, 0xffffff                               // 000000009DD4: 8652FF52 00FFFFFF
	s_cmp_lt_u32 s82, s66                                      // 000000009DDC: BF0A4252
	s_cselect_b32 s20, s36, s60                                // 000000009DE0: 85143C24
	v_readlane_b32 s82, v3, 9                                  // 000000009DE4: D2890052 00011303
	s_and_b32 s82, s82, 0xffffff                               // 000000009DEC: 8652FF52 00FFFFFF
	s_cmp_lt_u32 s82, s66                                      // 000000009DF4: BF0A4252
	s_cselect_b32 s21, s36, s60                                // 000000009DF8: 85153C24
	s_mov_b64 exec, s[20:21]                                   // 000000009DFC: BEFE0114
	global_atomic_add_f32 v6, v104, s[8:9]                     // 000000009E00: DD348000 00086806
	global_atomic_add_f32 v6, v108, s[8:9] offset:256          // 000000009E08: DD348100 00086C06
	s_mov_b64 exec, s[36:37]                                   // 000000009E10: BEFE0124
	v_mov_b32_e32 v6, v71                                      // 000000009E14: 7E0C0347
	s_mov_b64 s[60:61], 0                                      // 000000009E18: BEBC0180
	v_readlane_b32 s82, v3, 10                                 // 000000009E1C: D2890052 00011503
	s_and_b32 s82, s82, 0xffffff                               // 000000009E24: 8652FF52 00FFFFFF
	s_cmp_lt_u32 s82, s66                                      // 000000009E2C: BF0A4252
	s_cselect_b32 s20, s36, s60                                // 000000009E30: 85143C24
	v_readlane_b32 s82, v3, 11                                 // 000000009E34: D2890052 00011703
	s_and_b32 s82, s82, 0xffffff                               // 000000009E3C: 8652FF52 00FFFFFF
	s_cmp_lt_u32 s82, s66                                      // 000000009E44: BF0A4252
	s_cselect_b32 s21, s36, s60                                // 000000009E48: 85153C24
	s_mov_b64 exec, s[20:21]                                   // 000000009E4C: BEFE0114
	global_atomic_add_f32 v6, v105, s[8:9]                     // 000000009E50: DD348000 00086906
	global_atomic_add_f32 v6, v109, s[8:9] offset:256          // 000000009E58: DD348100 00086D06
	s_mov_b64 exec, s[36:37]                                   // 000000009E60: BEFE0124
	v_mov_b32_e32 v6, v72                                      // 000000009E64: 7E0C0348
	s_mov_b64 s[60:61], 0                                      // 000000009E68: BEBC0180
	v_readlane_b32 s82, v3, 12                                 // 000000009E6C: D2890052 00011903
	s_and_b32 s82, s82, 0xffffff                               // 000000009E74: 8652FF52 00FFFFFF
	s_cmp_lt_u32 s82, s66                                      // 000000009E7C: BF0A4252
	s_cselect_b32 s20, s36, s60                                // 000000009E80: 85143C24
	v_readlane_b32 s82, v3, 13                                 // 000000009E84: D2890052 00011B03
	s_and_b32 s82, s82, 0xffffff                               // 000000009E8C: 8652FF52 00FFFFFF
	s_cmp_lt_u32 s82, s66                                      // 000000009E94: BF0A4252
	s_cselect_b32 s21, s36, s60                                // 000000009E98: 85153C24
	s_mov_b64 exec, s[20:21]                                   // 000000009E9C: BEFE0114
	global_atomic_add_f32 v6, v112, s[8:9]                     // 000000009EA0: DD348000 00087006
	global_atomic_add_f32 v6, v116, s[8:9] offset:256          // 000000009EA8: DD348100 00087406
	s_mov_b64 exec, s[36:37]                                   // 000000009EB0: BEFE0124
	v_mov_b32_e32 v6, v73                                      // 000000009EB4: 7E0C0349
	s_mov_b64 s[60:61], 0                                      // 000000009EB8: BEBC0180
	v_readlane_b32 s82, v3, 14                                 // 000000009EBC: D2890052 00011D03
	s_and_b32 s82, s82, 0xffffff                               // 000000009EC4: 8652FF52 00FFFFFF
	s_cmp_lt_u32 s82, s66                                      // 000000009ECC: BF0A4252
	s_cselect_b32 s20, s36, s60                                // 000000009ED0: 85143C24
	v_readlane_b32 s82, v3, 15                                 // 000000009ED4: D2890052 00011F03
	s_and_b32 s82, s82, 0xffffff                               // 000000009EDC: 8652FF52 00FFFFFF
	s_cmp_lt_u32 s82, s66                                      // 000000009EE4: BF0A4252
	s_cselect_b32 s21, s36, s60                                // 000000009EE8: 85153C24
	s_mov_b64 exec, s[20:21]                                   // 000000009EEC: BEFE0114
	global_atomic_add_f32 v6, v113, s[8:9]                     // 000000009EF0: DD348000 00087106
	global_atomic_add_f32 v6, v117, s[8:9] offset:256          // 000000009EF8: DD348100 00087506
	s_mov_b64 exec, s[36:37]                                   // 000000009F00: BEFE0124
	v_mov_b32_e32 v6, v74                                      // 000000009F04: 7E0C034A
	s_mov_b64 s[60:61], 0                                      // 000000009F08: BEBC0180
	v_readlane_b32 s82, v3, 16                                 // 000000009F0C: D2890052 00012103
	s_and_b32 s82, s82, 0xffffff                               // 000000009F14: 8652FF52 00FFFFFF
	s_cmp_lt_u32 s82, s66                                      // 000000009F1C: BF0A4252
	s_cselect_b32 s20, s36, s60                                // 000000009F20: 85143C24
	v_readlane_b32 s82, v3, 17                                 // 000000009F24: D2890052 00012303
	s_and_b32 s82, s82, 0xffffff                               // 000000009F2C: 8652FF52 00FFFFFF
	s_cmp_lt_u32 s82, s66                                      // 000000009F34: BF0A4252
	s_cselect_b32 s21, s36, s60                                // 000000009F38: 85153C24
	s_mov_b64 exec, s[20:21]                                   // 000000009F3C: BEFE0114
	global_atomic_add_f32 v6, v120, s[8:9]                     // 000000009F40: DD348000 00087806
	global_atomic_add_f32 v6, v124, s[8:9] offset:256          // 000000009F48: DD348100 00087C06
	s_mov_b64 exec, s[36:37]                                   // 000000009F50: BEFE0124
	v_mov_b32_e32 v6, v75                                      // 000000009F54: 7E0C034B
	s_mov_b64 s[60:61], 0                                      // 000000009F58: BEBC0180
	v_readlane_b32 s82, v3, 18                                 // 000000009F5C: D2890052 00012503
	s_and_b32 s82, s82, 0xffffff                               // 000000009F64: 8652FF52 00FFFFFF
	s_cmp_lt_u32 s82, s66                                      // 000000009F6C: BF0A4252
	s_cselect_b32 s20, s36, s60                                // 000000009F70: 85143C24
	v_readlane_b32 s82, v3, 19                                 // 000000009F74: D2890052 00012703
	s_and_b32 s82, s82, 0xffffff                               // 000000009F7C: 8652FF52 00FFFFFF
	s_cmp_lt_u32 s82, s66                                      // 000000009F84: BF0A4252
	s_cselect_b32 s21, s36, s60                                // 000000009F88: 85153C24
	s_mov_b64 exec, s[20:21]                                   // 000000009F8C: BEFE0114
	global_atomic_add_f32 v6, v121, s[8:9]                     // 000000009F90: DD348000 00087906
	global_atomic_add_f32 v6, v125, s[8:9] offset:256          // 000000009F98: DD348100 00087D06
	s_mov_b64 exec, s[36:37]                                   // 000000009FA0: BEFE0124
	v_mov_b32_e32 v6, v76                                      // 000000009FA4: 7E0C034C
	s_mov_b64 s[60:61], 0                                      // 000000009FA8: BEBC0180
	v_readlane_b32 s82, v3, 20                                 // 000000009FAC: D2890052 00012903
	s_and_b32 s82, s82, 0xffffff                               // 000000009FB4: 8652FF52 00FFFFFF
	s_cmp_lt_u32 s82, s66                                      // 000000009FBC: BF0A4252
	s_cselect_b32 s20, s36, s60                                // 000000009FC0: 85143C24
	v_readlane_b32 s82, v3, 21                                 // 000000009FC4: D2890052 00012B03
	s_and_b32 s82, s82, 0xffffff                               // 000000009FCC: 8652FF52 00FFFFFF
	s_cmp_lt_u32 s82, s66                                      // 000000009FD4: BF0A4252
	s_cselect_b32 s21, s36, s60                                // 000000009FD8: 85153C24
	s_mov_b64 exec, s[20:21]                                   // 000000009FDC: BEFE0114
	global_atomic_add_f32 v6, v128, s[8:9]                     // 000000009FE0: DD348000 00088006
	global_atomic_add_f32 v6, v132, s[8:9] offset:256          // 000000009FE8: DD348100 00088406
	s_mov_b64 exec, s[36:37]                                   // 000000009FF0: BEFE0124
	v_mov_b32_e32 v6, v77                                      // 000000009FF4: 7E0C034D
	s_mov_b64 s[60:61], 0                                      // 000000009FF8: BEBC0180
	v_readlane_b32 s82, v3, 22                                 // 000000009FFC: D2890052 00012D03
	s_and_b32 s82, s82, 0xffffff                               // 00000000A004: 8652FF52 00FFFFFF
	s_cmp_lt_u32 s82, s66                                      // 00000000A00C: BF0A4252
	s_cselect_b32 s20, s36, s60                                // 00000000A010: 85143C24
	v_readlane_b32 s82, v3, 23                                 // 00000000A014: D2890052 00012F03
	s_and_b32 s82, s82, 0xffffff                               // 00000000A01C: 8652FF52 00FFFFFF
	s_cmp_lt_u32 s82, s66                                      // 00000000A024: BF0A4252
	s_cselect_b32 s21, s36, s60                                // 00000000A028: 85153C24
	s_mov_b64 exec, s[20:21]                                   // 00000000A02C: BEFE0114
	global_atomic_add_f32 v6, v129, s[8:9]                     // 00000000A030: DD348000 00088106
	global_atomic_add_f32 v6, v133, s[8:9] offset:256          // 00000000A038: DD348100 00088506
	s_mov_b64 exec, s[36:37]                                   // 00000000A040: BEFE0124
	v_mov_b32_e32 v6, v78                                      // 00000000A044: 7E0C034E
	s_mov_b64 s[60:61], 0                                      // 00000000A048: BEBC0180
	v_readlane_b32 s82, v3, 24                                 // 00000000A04C: D2890052 00013103
	s_and_b32 s82, s82, 0xffffff                               // 00000000A054: 8652FF52 00FFFFFF
	s_cmp_lt_u32 s82, s66                                      // 00000000A05C: BF0A4252
	s_cselect_b32 s20, s36, s60                                // 00000000A060: 85143C24
	v_readlane_b32 s82, v3, 25                                 // 00000000A064: D2890052 00013303
	s_and_b32 s82, s82, 0xffffff                               // 00000000A06C: 8652FF52 00FFFFFF
	s_cmp_lt_u32 s82, s66                                      // 00000000A074: BF0A4252
	s_cselect_b32 s21, s36, s60                                // 00000000A078: 85153C24
	s_mov_b64 exec, s[20:21]                                   // 00000000A07C: BEFE0114
	global_atomic_add_f32 v6, v136, s[8:9]                     // 00000000A080: DD348000 00088806
	global_atomic_add_f32 v6, v140, s[8:9] offset:256          // 00000000A088: DD348100 00088C06
	s_mov_b64 exec, s[36:37]                                   // 00000000A090: BEFE0124
	v_mov_b32_e32 v6, v79                                      // 00000000A094: 7E0C034F
	s_mov_b64 s[60:61], 0                                      // 00000000A098: BEBC0180
	v_readlane_b32 s82, v3, 26                                 // 00000000A09C: D2890052 00013503
	s_and_b32 s82, s82, 0xffffff                               // 00000000A0A4: 8652FF52 00FFFFFF
	s_cmp_lt_u32 s82, s66                                      // 00000000A0AC: BF0A4252
	s_cselect_b32 s20, s36, s60                                // 00000000A0B0: 85143C24
	v_readlane_b32 s82, v3, 27                                 // 00000000A0B4: D2890052 00013703
	s_and_b32 s82, s82, 0xffffff                               // 00000000A0BC: 8652FF52 00FFFFFF
	s_cmp_lt_u32 s82, s66                                      // 00000000A0C4: BF0A4252
	s_cselect_b32 s21, s36, s60                                // 00000000A0C8: 85153C24
	s_mov_b64 exec, s[20:21]                                   // 00000000A0CC: BEFE0114
	global_atomic_add_f32 v6, v137, s[8:9]                     // 00000000A0D0: DD348000 00088906
	global_atomic_add_f32 v6, v141, s[8:9] offset:256          // 00000000A0D8: DD348100 00088D06
	s_mov_b64 exec, s[36:37]                                   // 00000000A0E0: BEFE0124
	v_mov_b32_e32 v6, v80                                      // 00000000A0E4: 7E0C0350
	s_mov_b64 s[60:61], 0                                      // 00000000A0E8: BEBC0180
	v_readlane_b32 s82, v3, 28                                 // 00000000A0EC: D2890052 00013903
	s_and_b32 s82, s82, 0xffffff                               // 00000000A0F4: 8652FF52 00FFFFFF
	s_cmp_lt_u32 s82, s66                                      // 00000000A0FC: BF0A4252
	s_cselect_b32 s20, s36, s60                                // 00000000A100: 85143C24
	v_readlane_b32 s82, v3, 29                                 // 00000000A104: D2890052 00013B03
	s_and_b32 s82, s82, 0xffffff                               // 00000000A10C: 8652FF52 00FFFFFF
	s_cmp_lt_u32 s82, s66                                      // 00000000A114: BF0A4252
	s_cselect_b32 s21, s36, s60                                // 00000000A118: 85153C24
	s_mov_b64 exec, s[20:21]                                   // 00000000A11C: BEFE0114
	global_atomic_add_f32 v6, v144, s[8:9]                     // 00000000A120: DD348000 00089006
	global_atomic_add_f32 v6, v148, s[8:9] offset:256          // 00000000A128: DD348100 00089406
	s_mov_b64 exec, s[36:37]                                   // 00000000A130: BEFE0124
	v_mov_b32_e32 v6, v81                                      // 00000000A134: 7E0C0351
	s_mov_b64 s[60:61], 0                                      // 00000000A138: BEBC0180
	v_readlane_b32 s82, v3, 30                                 // 00000000A13C: D2890052 00013D03
	s_and_b32 s82, s82, 0xffffff                               // 00000000A144: 8652FF52 00FFFFFF
	s_cmp_lt_u32 s82, s66                                      // 00000000A14C: BF0A4252
	s_cselect_b32 s20, s36, s60                                // 00000000A150: 85143C24
	v_readlane_b32 s82, v3, 31                                 // 00000000A154: D2890052 00013F03
	s_and_b32 s82, s82, 0xffffff                               // 00000000A15C: 8652FF52 00FFFFFF
	s_cmp_lt_u32 s82, s66                                      // 00000000A164: BF0A4252
	s_cselect_b32 s21, s36, s60                                // 00000000A168: 85153C24
	s_mov_b64 exec, s[20:21]                                   // 00000000A16C: BEFE0114
	global_atomic_add_f32 v6, v145, s[8:9]                     // 00000000A170: DD348000 00089106
	global_atomic_add_f32 v6, v149, s[8:9] offset:256          // 00000000A178: DD348100 00089506
	s_mov_b64 exec, s[36:37]                                   // 00000000A180: BEFE0124
	v_mov_b32_e32 v6, v82                                      // 00000000A184: 7E0C0352
	s_mov_b64 s[60:61], 0                                      // 00000000A188: BEBC0180
	v_readlane_b32 s82, v3, 32                                 // 00000000A18C: D2890052 00014103
	s_and_b32 s82, s82, 0xffffff                               // 00000000A194: 8652FF52 00FFFFFF
	s_cmp_lt_u32 s82, s66                                      // 00000000A19C: BF0A4252
	s_cselect_b32 s20, s36, s60                                // 00000000A1A0: 85143C24
	v_readlane_b32 s82, v3, 33                                 // 00000000A1A4: D2890052 00014303
	s_and_b32 s82, s82, 0xffffff                               // 00000000A1AC: 8652FF52 00FFFFFF
	s_cmp_lt_u32 s82, s66                                      // 00000000A1B4: BF0A4252
	s_cselect_b32 s21, s36, s60                                // 00000000A1B8: 85153C24
	s_mov_b64 exec, s[20:21]                                   // 00000000A1BC: BEFE0114
	global_atomic_add_f32 v6, v152, s[8:9]                     // 00000000A1C0: DD348000 00089806
	global_atomic_add_f32 v6, v156, s[8:9] offset:256          // 00000000A1C8: DD348100 00089C06
	s_mov_b64 exec, s[36:37]                                   // 00000000A1D0: BEFE0124
	v_mov_b32_e32 v6, v83                                      // 00000000A1D4: 7E0C0353
	s_mov_b64 s[60:61], 0                                      // 00000000A1D8: BEBC0180
	v_readlane_b32 s82, v3, 34                                 // 00000000A1DC: D2890052 00014503
	s_and_b32 s82, s82, 0xffffff                               // 00000000A1E4: 8652FF52 00FFFFFF
	s_cmp_lt_u32 s82, s66                                      // 00000000A1EC: BF0A4252
	s_cselect_b32 s20, s36, s60                                // 00000000A1F0: 85143C24
	v_readlane_b32 s82, v3, 35                                 // 00000000A1F4: D2890052 00014703
	s_and_b32 s82, s82, 0xffffff                               // 00000000A1FC: 8652FF52 00FFFFFF
	s_cmp_lt_u32 s82, s66                                      // 00000000A204: BF0A4252
	s_cselect_b32 s21, s36, s60                                // 00000000A208: 85153C24
	s_mov_b64 exec, s[20:21]                                   // 00000000A20C: BEFE0114
	global_atomic_add_f32 v6, v153, s[8:9]                     // 00000000A210: DD348000 00089906
	global_atomic_add_f32 v6, v157, s[8:9] offset:256          // 00000000A218: DD348100 00089D06
	s_mov_b64 exec, s[36:37]                                   // 00000000A220: BEFE0124
	ds_write_b64 v20, v[90:91]                                 // 00000000A224: D89A0000 00005A14
	ds_write_b64 v20, v[94:95] offset:4352                     // 00000000A22C: D89A1100 00005E14
	ds_write_b64 v20, v[98:99] offset:8704                     // 00000000A234: D89A2200 00006214
	ds_write_b64 v20, v[102:103] offset:13056                  // 00000000A23C: D89A3300 00006614
	ds_write_b64 v20, v[106:107] offset:17408                  // 00000000A244: D89A4400 00006A14
	ds_write_b64 v20, v[110:111] offset:21760                  // 00000000A24C: D89A5500 00006E14
	ds_write_b64 v20, v[114:115] offset:26112                  // 00000000A254: D89A6600 00007214
	ds_write_b64 v20, v[118:119] offset:30464                  // 00000000A25C: D89A7700 00007614
	ds_write_b64 v20, v[122:123] offset:34816                  // 00000000A264: D89A8800 00007A14
	ds_write_b64 v20, v[126:127] offset:2176                   // 00000000A26C: D89A0880 00007E14
	ds_write_b64 v20, v[130:131] offset:6528                   // 00000000A274: D89A1980 00008214
	ds_write_b64 v20, v[134:135] offset:10880                  // 00000000A27C: D89A2A80 00008614
	ds_write_b64 v20, v[138:139] offset:15232                  // 00000000A284: D89A3B80 00008A14
	ds_write_b64 v20, v[142:143] offset:19584                  // 00000000A28C: D89A4C80 00008E14
	ds_write_b64 v20, v[146:147] offset:23936                  // 00000000A294: D89A5D80 00009214
	ds_write_b64 v20, v[150:151] offset:28288                  // 00000000A29C: D89A6E80 00009614
	ds_write_b64 v20, v[154:155] offset:32640                  // 00000000A2A4: D89A7F80 00009A14
	ds_write_b64 v20, v[158:159] offset:36992                  // 00000000A2AC: D89A9080 00009E14
	s_waitcnt lgkmcnt(0)                                       // 00000000A2B4: BF8CC07F
	s_barrier                                                  // 00000000A2B8: BF8A0000
	ds_read_b32 v90, v21                                       // 00000000A2BC: D86C0000 5A000015
	ds_read_b32 v91, v21 offset:64                             // 00000000A2C4: D86C0040 5B000015
	ds_read_b32 v94, v21 offset:2176                           // 00000000A2CC: D86C0880 5E000015
	ds_read_b32 v95, v21 offset:2240                           // 00000000A2D4: D86C08C0 5F000015
	ds_read_b32 v98, v21 offset:4352                           // 00000000A2DC: D86C1100 62000015
	ds_read_b32 v99, v21 offset:4416                           // 00000000A2E4: D86C1140 63000015
	ds_read_b32 v102, v21 offset:6528                          // 00000000A2EC: D86C1980 66000015
	ds_read_b32 v103, v21 offset:6592                          // 00000000A2F4: D86C19C0 67000015
	ds_read_b32 v106, v21 offset:8704                          // 00000000A2FC: D86C2200 6A000015
	ds_read_b32 v107, v21 offset:8768                          // 00000000A304: D86C2240 6B000015
	ds_read_b32 v110, v21 offset:10880                         // 00000000A30C: D86C2A80 6E000015
	ds_read_b32 v111, v21 offset:10944                         // 00000000A314: D86C2AC0 6F000015
	ds_read_b32 v114, v21 offset:13056                         // 00000000A31C: D86C3300 72000015
	ds_read_b32 v115, v21 offset:13120                         // 00000000A324: D86C3340 73000015
	ds_read_b32 v118, v21 offset:15232                         // 00000000A32C: D86C3B80 76000015
	ds_read_b32 v119, v21 offset:15296                         // 00000000A334: D86C3BC0 77000015
	ds_read_b32 v122, v21 offset:17408                         // 00000000A33C: D86C4400 7A000015
	ds_read_b32 v123, v21 offset:17472                         // 00000000A344: D86C4440 7B000015
	ds_read_b32 v126, v21 offset:19584                         // 00000000A34C: D86C4C80 7E000015
	ds_read_b32 v127, v21 offset:19648                         // 00000000A354: D86C4CC0 7F000015
	ds_read_b32 v130, v21 offset:21760                         // 00000000A35C: D86C5500 82000015
	ds_read_b32 v131, v21 offset:21824                         // 00000000A364: D86C5540 83000015
	ds_read_b32 v134, v21 offset:23936                         // 00000000A36C: D86C5D80 86000015
	ds_read_b32 v135, v21 offset:24000                         // 00000000A374: D86C5DC0 87000015
	ds_read_b32 v138, v21 offset:26112                         // 00000000A37C: D86C6600 8A000015
	ds_read_b32 v139, v21 offset:26176                         // 00000000A384: D86C6640 8B000015
	ds_read_b32 v142, v21 offset:28288                         // 00000000A38C: D86C6E80 8E000015
	ds_read_b32 v143, v21 offset:28352                         // 00000000A394: D86C6EC0 8F000015
	ds_read_b32 v146, v21 offset:30464                         // 00000000A39C: D86C7700 92000015
	ds_read_b32 v147, v21 offset:30528                         // 00000000A3A4: D86C7740 93000015
	ds_read_b32 v150, v21 offset:32640                         // 00000000A3AC: D86C7F80 96000015
	ds_read_b32 v151, v21 offset:32704                         // 00000000A3B4: D86C7FC0 97000015
	ds_read_b32 v154, v21 offset:34816                         // 00000000A3BC: D86C8800 9A000015
	ds_read_b32 v155, v21 offset:34880                         // 00000000A3C4: D86C8840 9B000015
	ds_read_b32 v158, v21 offset:36992                         // 00000000A3CC: D86C9080 9E000015
	ds_read_b32 v159, v21 offset:37056                         // 00000000A3D4: D86C90C0 9F000015
	s_waitcnt lgkmcnt(0)                                       // 00000000A3DC: BF8CC07F
	v_mov_b32_e32 v7, 0                                        // 00000000A3E0: 7E0E0280
	s_mov_b64 exec, s[36:37]                                   // 00000000A3E4: BEFE0124
	v_mov_b32_e32 v6, v66                                      // 00000000A3E8: 7E0C0342
	s_mov_b64 s[60:61], 0                                      // 00000000A3EC: BEBC0180
	v_readlane_b32 s82, v3, 0                                  // 00000000A3F0: D2890052 00010103
	s_and_b32 s82, s82, 0xffffff                               // 00000000A3F8: 8652FF52 00FFFFFF
	s_cmp_lt_u32 s82, s66                                      // 00000000A400: BF0A4252
	s_cselect_b32 s20, s36, s60                                // 00000000A404: 85143C24
	v_readlane_b32 s82, v3, 1                                  // 00000000A408: D2890052 00010303
	s_and_b32 s82, s82, 0xffffff                               // 00000000A410: 8652FF52 00FFFFFF
	s_cmp_lt_u32 s82, s66                                      // 00000000A418: BF0A4252
	s_cselect_b32 s21, s36, s60                                // 00000000A41C: 85153C24
	s_mov_b64 exec, s[20:21]                                   // 00000000A420: BEFE0114
	global_atomic_add_f32 v6, v90, s[8:9] offset:8             // 00000000A424: DD348008 00085A06
	global_atomic_add_f32 v6, v94, s[8:9] offset:264           // 00000000A42C: DD348108 00085E06
	s_mov_b64 exec, s[36:37]                                   // 00000000A434: BEFE0124
	v_mov_b32_e32 v6, v67                                      // 00000000A438: 7E0C0343
	s_mov_b64 s[60:61], 0                                      // 00000000A43C: BEBC0180
	v_readlane_b32 s82, v3, 2                                  // 00000000A440: D2890052 00010503
	s_and_b32 s82, s82, 0xffffff                               // 00000000A448: 8652FF52 00FFFFFF
	s_cmp_lt_u32 s82, s66                                      // 00000000A450: BF0A4252
	s_cselect_b32 s20, s36, s60                                // 00000000A454: 85143C24
	v_readlane_b32 s82, v3, 3                                  // 00000000A458: D2890052 00010703
	s_and_b32 s82, s82, 0xffffff                               // 00000000A460: 8652FF52 00FFFFFF
	s_cmp_lt_u32 s82, s66                                      // 00000000A468: BF0A4252
	s_cselect_b32 s21, s36, s60                                // 00000000A46C: 85153C24
	s_mov_b64 exec, s[20:21]                                   // 00000000A470: BEFE0114
	global_atomic_add_f32 v6, v91, s[8:9] offset:8             // 00000000A474: DD348008 00085B06
	global_atomic_add_f32 v6, v95, s[8:9] offset:264           // 00000000A47C: DD348108 00085F06
	s_mov_b64 exec, s[36:37]                                   // 00000000A484: BEFE0124
	v_mov_b32_e32 v6, v68                                      // 00000000A488: 7E0C0344
	s_mov_b64 s[60:61], 0                                      // 00000000A48C: BEBC0180
	v_readlane_b32 s82, v3, 4                                  // 00000000A490: D2890052 00010903
	s_and_b32 s82, s82, 0xffffff                               // 00000000A498: 8652FF52 00FFFFFF
	s_cmp_lt_u32 s82, s66                                      // 00000000A4A0: BF0A4252
	s_cselect_b32 s20, s36, s60                                // 00000000A4A4: 85143C24
	v_readlane_b32 s82, v3, 5                                  // 00000000A4A8: D2890052 00010B03
	s_and_b32 s82, s82, 0xffffff                               // 00000000A4B0: 8652FF52 00FFFFFF
	s_cmp_lt_u32 s82, s66                                      // 00000000A4B8: BF0A4252
	s_cselect_b32 s21, s36, s60                                // 00000000A4BC: 85153C24
	s_mov_b64 exec, s[20:21]                                   // 00000000A4C0: BEFE0114
	global_atomic_add_f32 v6, v98, s[8:9] offset:8             // 00000000A4C4: DD348008 00086206
	global_atomic_add_f32 v6, v102, s[8:9] offset:264          // 00000000A4CC: DD348108 00086606
	s_mov_b64 exec, s[36:37]                                   // 00000000A4D4: BEFE0124
	v_mov_b32_e32 v6, v69                                      // 00000000A4D8: 7E0C0345
	s_mov_b64 s[60:61], 0                                      // 00000000A4DC: BEBC0180
	v_readlane_b32 s82, v3, 6                                  // 00000000A4E0: D2890052 00010D03
	s_and_b32 s82, s82, 0xffffff                               // 00000000A4E8: 8652FF52 00FFFFFF
	s_cmp_lt_u32 s82, s66                                      // 00000000A4F0: BF0A4252
	s_cselect_b32 s20, s36, s60                                // 00000000A4F4: 85143C24
	v_readlane_b32 s82, v3, 7                                  // 00000000A4F8: D2890052 00010F03
	s_and_b32 s82, s82, 0xffffff                               // 00000000A500: 8652FF52 00FFFFFF
	s_cmp_lt_u32 s82, s66                                      // 00000000A508: BF0A4252
	s_cselect_b32 s21, s36, s60                                // 00000000A50C: 85153C24
	s_mov_b64 exec, s[20:21]                                   // 00000000A510: BEFE0114
	global_atomic_add_f32 v6, v99, s[8:9] offset:8             // 00000000A514: DD348008 00086306
	global_atomic_add_f32 v6, v103, s[8:9] offset:264          // 00000000A51C: DD348108 00086706
	s_mov_b64 exec, s[36:37]                                   // 00000000A524: BEFE0124
	v_mov_b32_e32 v6, v70                                      // 00000000A528: 7E0C0346
	s_mov_b64 s[60:61], 0                                      // 00000000A52C: BEBC0180
	v_readlane_b32 s82, v3, 8                                  // 00000000A530: D2890052 00011103
	s_and_b32 s82, s82, 0xffffff                               // 00000000A538: 8652FF52 00FFFFFF
	s_cmp_lt_u32 s82, s66                                      // 00000000A540: BF0A4252
	s_cselect_b32 s20, s36, s60                                // 00000000A544: 85143C24
	v_readlane_b32 s82, v3, 9                                  // 00000000A548: D2890052 00011303
	s_and_b32 s82, s82, 0xffffff                               // 00000000A550: 8652FF52 00FFFFFF
	s_cmp_lt_u32 s82, s66                                      // 00000000A558: BF0A4252
	s_cselect_b32 s21, s36, s60                                // 00000000A55C: 85153C24
	s_mov_b64 exec, s[20:21]                                   // 00000000A560: BEFE0114
	global_atomic_add_f32 v6, v106, s[8:9] offset:8            // 00000000A564: DD348008 00086A06
	global_atomic_add_f32 v6, v110, s[8:9] offset:264          // 00000000A56C: DD348108 00086E06
	s_mov_b64 exec, s[36:37]                                   // 00000000A574: BEFE0124
	v_mov_b32_e32 v6, v71                                      // 00000000A578: 7E0C0347
	s_mov_b64 s[60:61], 0                                      // 00000000A57C: BEBC0180
	v_readlane_b32 s82, v3, 10                                 // 00000000A580: D2890052 00011503
	s_and_b32 s82, s82, 0xffffff                               // 00000000A588: 8652FF52 00FFFFFF
	s_cmp_lt_u32 s82, s66                                      // 00000000A590: BF0A4252
	s_cselect_b32 s20, s36, s60                                // 00000000A594: 85143C24
	v_readlane_b32 s82, v3, 11                                 // 00000000A598: D2890052 00011703
	s_and_b32 s82, s82, 0xffffff                               // 00000000A5A0: 8652FF52 00FFFFFF
	s_cmp_lt_u32 s82, s66                                      // 00000000A5A8: BF0A4252
	s_cselect_b32 s21, s36, s60                                // 00000000A5AC: 85153C24
	s_mov_b64 exec, s[20:21]                                   // 00000000A5B0: BEFE0114
	global_atomic_add_f32 v6, v107, s[8:9] offset:8            // 00000000A5B4: DD348008 00086B06
	global_atomic_add_f32 v6, v111, s[8:9] offset:264          // 00000000A5BC: DD348108 00086F06
	s_mov_b64 exec, s[36:37]                                   // 00000000A5C4: BEFE0124
	v_mov_b32_e32 v6, v72                                      // 00000000A5C8: 7E0C0348
	s_mov_b64 s[60:61], 0                                      // 00000000A5CC: BEBC0180
	v_readlane_b32 s82, v3, 12                                 // 00000000A5D0: D2890052 00011903
	s_and_b32 s82, s82, 0xffffff                               // 00000000A5D8: 8652FF52 00FFFFFF
	s_cmp_lt_u32 s82, s66                                      // 00000000A5E0: BF0A4252
	s_cselect_b32 s20, s36, s60                                // 00000000A5E4: 85143C24
	v_readlane_b32 s82, v3, 13                                 // 00000000A5E8: D2890052 00011B03
	s_and_b32 s82, s82, 0xffffff                               // 00000000A5F0: 8652FF52 00FFFFFF
	s_cmp_lt_u32 s82, s66                                      // 00000000A5F8: BF0A4252
	s_cselect_b32 s21, s36, s60                                // 00000000A5FC: 85153C24
	s_mov_b64 exec, s[20:21]                                   // 00000000A600: BEFE0114
	global_atomic_add_f32 v6, v114, s[8:9] offset:8            // 00000000A604: DD348008 00087206
	global_atomic_add_f32 v6, v118, s[8:9] offset:264          // 00000000A60C: DD348108 00087606
	s_mov_b64 exec, s[36:37]                                   // 00000000A614: BEFE0124
	v_mov_b32_e32 v6, v73                                      // 00000000A618: 7E0C0349
	s_mov_b64 s[60:61], 0                                      // 00000000A61C: BEBC0180
	v_readlane_b32 s82, v3, 14                                 // 00000000A620: D2890052 00011D03
	s_and_b32 s82, s82, 0xffffff                               // 00000000A628: 8652FF52 00FFFFFF
	s_cmp_lt_u32 s82, s66                                      // 00000000A630: BF0A4252
	s_cselect_b32 s20, s36, s60                                // 00000000A634: 85143C24
	v_readlane_b32 s82, v3, 15                                 // 00000000A638: D2890052 00011F03
	s_and_b32 s82, s82, 0xffffff                               // 00000000A640: 8652FF52 00FFFFFF
	s_cmp_lt_u32 s82, s66                                      // 00000000A648: BF0A4252
	s_cselect_b32 s21, s36, s60                                // 00000000A64C: 85153C24
	s_mov_b64 exec, s[20:21]                                   // 00000000A650: BEFE0114
	global_atomic_add_f32 v6, v115, s[8:9] offset:8            // 00000000A654: DD348008 00087306
	global_atomic_add_f32 v6, v119, s[8:9] offset:264          // 00000000A65C: DD348108 00087706
	s_mov_b64 exec, s[36:37]                                   // 00000000A664: BEFE0124
	v_mov_b32_e32 v6, v74                                      // 00000000A668: 7E0C034A
	s_mov_b64 s[60:61], 0                                      // 00000000A66C: BEBC0180
	v_readlane_b32 s82, v3, 16                                 // 00000000A670: D2890052 00012103
	s_and_b32 s82, s82, 0xffffff                               // 00000000A678: 8652FF52 00FFFFFF
	s_cmp_lt_u32 s82, s66                                      // 00000000A680: BF0A4252
	s_cselect_b32 s20, s36, s60                                // 00000000A684: 85143C24
	v_readlane_b32 s82, v3, 17                                 // 00000000A688: D2890052 00012303
	s_and_b32 s82, s82, 0xffffff                               // 00000000A690: 8652FF52 00FFFFFF
	s_cmp_lt_u32 s82, s66                                      // 00000000A698: BF0A4252
	s_cselect_b32 s21, s36, s60                                // 00000000A69C: 85153C24
	s_mov_b64 exec, s[20:21]                                   // 00000000A6A0: BEFE0114
	global_atomic_add_f32 v6, v122, s[8:9] offset:8            // 00000000A6A4: DD348008 00087A06
	global_atomic_add_f32 v6, v126, s[8:9] offset:264          // 00000000A6AC: DD348108 00087E06
	s_mov_b64 exec, s[36:37]                                   // 00000000A6B4: BEFE0124
	v_mov_b32_e32 v6, v75                                      // 00000000A6B8: 7E0C034B
	s_mov_b64 s[60:61], 0                                      // 00000000A6BC: BEBC0180
	v_readlane_b32 s82, v3, 18                                 // 00000000A6C0: D2890052 00012503
	s_and_b32 s82, s82, 0xffffff                               // 00000000A6C8: 8652FF52 00FFFFFF
	s_cmp_lt_u32 s82, s66                                      // 00000000A6D0: BF0A4252
	s_cselect_b32 s20, s36, s60                                // 00000000A6D4: 85143C24
	v_readlane_b32 s82, v3, 19                                 // 00000000A6D8: D2890052 00012703
	s_and_b32 s82, s82, 0xffffff                               // 00000000A6E0: 8652FF52 00FFFFFF
	s_cmp_lt_u32 s82, s66                                      // 00000000A6E8: BF0A4252
	s_cselect_b32 s21, s36, s60                                // 00000000A6EC: 85153C24
	s_mov_b64 exec, s[20:21]                                   // 00000000A6F0: BEFE0114
	global_atomic_add_f32 v6, v123, s[8:9] offset:8            // 00000000A6F4: DD348008 00087B06
	global_atomic_add_f32 v6, v127, s[8:9] offset:264          // 00000000A6FC: DD348108 00087F06
	s_mov_b64 exec, s[36:37]                                   // 00000000A704: BEFE0124
	v_mov_b32_e32 v6, v76                                      // 00000000A708: 7E0C034C
	s_mov_b64 s[60:61], 0                                      // 00000000A70C: BEBC0180
	v_readlane_b32 s82, v3, 20                                 // 00000000A710: D2890052 00012903
	s_and_b32 s82, s82, 0xffffff                               // 00000000A718: 8652FF52 00FFFFFF
	s_cmp_lt_u32 s82, s66                                      // 00000000A720: BF0A4252
	s_cselect_b32 s20, s36, s60                                // 00000000A724: 85143C24
	v_readlane_b32 s82, v3, 21                                 // 00000000A728: D2890052 00012B03
	s_and_b32 s82, s82, 0xffffff                               // 00000000A730: 8652FF52 00FFFFFF
	s_cmp_lt_u32 s82, s66                                      // 00000000A738: BF0A4252
	s_cselect_b32 s21, s36, s60                                // 00000000A73C: 85153C24
	s_mov_b64 exec, s[20:21]                                   // 00000000A740: BEFE0114
	global_atomic_add_f32 v6, v130, s[8:9] offset:8            // 00000000A744: DD348008 00088206
	global_atomic_add_f32 v6, v134, s[8:9] offset:264          // 00000000A74C: DD348108 00088606
	s_mov_b64 exec, s[36:37]                                   // 00000000A754: BEFE0124
	v_mov_b32_e32 v6, v77                                      // 00000000A758: 7E0C034D
	s_mov_b64 s[60:61], 0                                      // 00000000A75C: BEBC0180
	v_readlane_b32 s82, v3, 22                                 // 00000000A760: D2890052 00012D03
	s_and_b32 s82, s82, 0xffffff                               // 00000000A768: 8652FF52 00FFFFFF
	s_cmp_lt_u32 s82, s66                                      // 00000000A770: BF0A4252
	s_cselect_b32 s20, s36, s60                                // 00000000A774: 85143C24
	v_readlane_b32 s82, v3, 23                                 // 00000000A778: D2890052 00012F03
	s_and_b32 s82, s82, 0xffffff                               // 00000000A780: 8652FF52 00FFFFFF
	s_cmp_lt_u32 s82, s66                                      // 00000000A788: BF0A4252
	s_cselect_b32 s21, s36, s60                                // 00000000A78C: 85153C24
	s_mov_b64 exec, s[20:21]                                   // 00000000A790: BEFE0114
	global_atomic_add_f32 v6, v131, s[8:9] offset:8            // 00000000A794: DD348008 00088306
	global_atomic_add_f32 v6, v135, s[8:9] offset:264          // 00000000A79C: DD348108 00088706
	s_mov_b64 exec, s[36:37]                                   // 00000000A7A4: BEFE0124
	v_mov_b32_e32 v6, v78                                      // 00000000A7A8: 7E0C034E
	s_mov_b64 s[60:61], 0                                      // 00000000A7AC: BEBC0180
	v_readlane_b32 s82, v3, 24                                 // 00000000A7B0: D2890052 00013103
	s_and_b32 s82, s82, 0xffffff                               // 00000000A7B8: 8652FF52 00FFFFFF
	s_cmp_lt_u32 s82, s66                                      // 00000000A7C0: BF0A4252
	s_cselect_b32 s20, s36, s60                                // 00000000A7C4: 85143C24
	v_readlane_b32 s82, v3, 25                                 // 00000000A7C8: D2890052 00013303
	s_and_b32 s82, s82, 0xffffff                               // 00000000A7D0: 8652FF52 00FFFFFF
	s_cmp_lt_u32 s82, s66                                      // 00000000A7D8: BF0A4252
	s_cselect_b32 s21, s36, s60                                // 00000000A7DC: 85153C24
	s_mov_b64 exec, s[20:21]                                   // 00000000A7E0: BEFE0114
	global_atomic_add_f32 v6, v138, s[8:9] offset:8            // 00000000A7E4: DD348008 00088A06
	global_atomic_add_f32 v6, v142, s[8:9] offset:264          // 00000000A7EC: DD348108 00088E06
	s_mov_b64 exec, s[36:37]                                   // 00000000A7F4: BEFE0124
	v_mov_b32_e32 v6, v79                                      // 00000000A7F8: 7E0C034F
	s_mov_b64 s[60:61], 0                                      // 00000000A7FC: BEBC0180
	v_readlane_b32 s82, v3, 26                                 // 00000000A800: D2890052 00013503
	s_and_b32 s82, s82, 0xffffff                               // 00000000A808: 8652FF52 00FFFFFF
	s_cmp_lt_u32 s82, s66                                      // 00000000A810: BF0A4252
	s_cselect_b32 s20, s36, s60                                // 00000000A814: 85143C24
	v_readlane_b32 s82, v3, 27                                 // 00000000A818: D2890052 00013703
	s_and_b32 s82, s82, 0xffffff                               // 00000000A820: 8652FF52 00FFFFFF
	s_cmp_lt_u32 s82, s66                                      // 00000000A828: BF0A4252
	s_cselect_b32 s21, s36, s60                                // 00000000A82C: 85153C24
	s_mov_b64 exec, s[20:21]                                   // 00000000A830: BEFE0114
	global_atomic_add_f32 v6, v139, s[8:9] offset:8            // 00000000A834: DD348008 00088B06
	global_atomic_add_f32 v6, v143, s[8:9] offset:264          // 00000000A83C: DD348108 00088F06
	s_mov_b64 exec, s[36:37]                                   // 00000000A844: BEFE0124
	v_mov_b32_e32 v6, v80                                      // 00000000A848: 7E0C0350
	s_mov_b64 s[60:61], 0                                      // 00000000A84C: BEBC0180
	v_readlane_b32 s82, v3, 28                                 // 00000000A850: D2890052 00013903
	s_and_b32 s82, s82, 0xffffff                               // 00000000A858: 8652FF52 00FFFFFF
	s_cmp_lt_u32 s82, s66                                      // 00000000A860: BF0A4252
	s_cselect_b32 s20, s36, s60                                // 00000000A864: 85143C24
	v_readlane_b32 s82, v3, 29                                 // 00000000A868: D2890052 00013B03
	s_and_b32 s82, s82, 0xffffff                               // 00000000A870: 8652FF52 00FFFFFF
	s_cmp_lt_u32 s82, s66                                      // 00000000A878: BF0A4252
	s_cselect_b32 s21, s36, s60                                // 00000000A87C: 85153C24
	s_mov_b64 exec, s[20:21]                                   // 00000000A880: BEFE0114
	global_atomic_add_f32 v6, v146, s[8:9] offset:8            // 00000000A884: DD348008 00089206
	global_atomic_add_f32 v6, v150, s[8:9] offset:264          // 00000000A88C: DD348108 00089606
	s_mov_b64 exec, s[36:37]                                   // 00000000A894: BEFE0124
	v_mov_b32_e32 v6, v81                                      // 00000000A898: 7E0C0351
	s_mov_b64 s[60:61], 0                                      // 00000000A89C: BEBC0180
	v_readlane_b32 s82, v3, 30                                 // 00000000A8A0: D2890052 00013D03
	s_and_b32 s82, s82, 0xffffff                               // 00000000A8A8: 8652FF52 00FFFFFF
	s_cmp_lt_u32 s82, s66                                      // 00000000A8B0: BF0A4252
	s_cselect_b32 s20, s36, s60                                // 00000000A8B4: 85143C24
	v_readlane_b32 s82, v3, 31                                 // 00000000A8B8: D2890052 00013F03
	s_and_b32 s82, s82, 0xffffff                               // 00000000A8C0: 8652FF52 00FFFFFF
	s_cmp_lt_u32 s82, s66                                      // 00000000A8C8: BF0A4252
	s_cselect_b32 s21, s36, s60                                // 00000000A8CC: 85153C24
	s_mov_b64 exec, s[20:21]                                   // 00000000A8D0: BEFE0114
	global_atomic_add_f32 v6, v147, s[8:9] offset:8            // 00000000A8D4: DD348008 00089306
	global_atomic_add_f32 v6, v151, s[8:9] offset:264          // 00000000A8DC: DD348108 00089706
	s_mov_b64 exec, s[36:37]                                   // 00000000A8E4: BEFE0124
	v_mov_b32_e32 v6, v82                                      // 00000000A8E8: 7E0C0352
	s_mov_b64 s[60:61], 0                                      // 00000000A8EC: BEBC0180
	v_readlane_b32 s82, v3, 32                                 // 00000000A8F0: D2890052 00014103
	s_and_b32 s82, s82, 0xffffff                               // 00000000A8F8: 8652FF52 00FFFFFF
	s_cmp_lt_u32 s82, s66                                      // 00000000A900: BF0A4252
	s_cselect_b32 s20, s36, s60                                // 00000000A904: 85143C24
	v_readlane_b32 s82, v3, 33                                 // 00000000A908: D2890052 00014303
	s_and_b32 s82, s82, 0xffffff                               // 00000000A910: 8652FF52 00FFFFFF
	s_cmp_lt_u32 s82, s66                                      // 00000000A918: BF0A4252
	s_cselect_b32 s21, s36, s60                                // 00000000A91C: 85153C24
	s_mov_b64 exec, s[20:21]                                   // 00000000A920: BEFE0114
	global_atomic_add_f32 v6, v154, s[8:9] offset:8            // 00000000A924: DD348008 00089A06
	global_atomic_add_f32 v6, v158, s[8:9] offset:264          // 00000000A92C: DD348108 00089E06
	s_mov_b64 exec, s[36:37]                                   // 00000000A934: BEFE0124
	v_mov_b32_e32 v6, v83                                      // 00000000A938: 7E0C0353
	s_mov_b64 s[60:61], 0                                      // 00000000A93C: BEBC0180
	v_readlane_b32 s82, v3, 34                                 // 00000000A940: D2890052 00014503
	s_and_b32 s82, s82, 0xffffff                               // 00000000A948: 8652FF52 00FFFFFF
	s_cmp_lt_u32 s82, s66                                      // 00000000A950: BF0A4252
	s_cselect_b32 s20, s36, s60                                // 00000000A954: 85143C24
	v_readlane_b32 s82, v3, 35                                 // 00000000A958: D2890052 00014703
	s_and_b32 s82, s82, 0xffffff                               // 00000000A960: 8652FF52 00FFFFFF
	s_cmp_lt_u32 s82, s66                                      // 00000000A968: BF0A4252
	s_cselect_b32 s21, s36, s60                                // 00000000A96C: 85153C24
	s_mov_b64 exec, s[20:21]                                   // 00000000A970: BEFE0114
	global_atomic_add_f32 v6, v155, s[8:9] offset:8            // 00000000A974: DD348008 00089B06
	global_atomic_add_f32 v6, v159, s[8:9] offset:264          // 00000000A97C: DD348108 00089F06
	s_mov_b64 exec, s[36:37]                                   // 00000000A984: BEFE0124
	ds_write_b64 v20, v[160:161]                               // 00000000A988: D89A0000 0000A014
	ds_write_b64 v20, v[164:165] offset:4352                   // 00000000A990: D89A1100 0000A414
	ds_write_b64 v20, v[168:169] offset:8704                   // 00000000A998: D89A2200 0000A814
	ds_write_b64 v20, v[172:173] offset:13056                  // 00000000A9A0: D89A3300 0000AC14
	ds_write_b64 v20, v[176:177] offset:17408                  // 00000000A9A8: D89A4400 0000B014
	ds_write_b64 v20, v[180:181] offset:21760                  // 00000000A9B0: D89A5500 0000B414
	ds_write_b64 v20, v[184:185] offset:26112                  // 00000000A9B8: D89A6600 0000B814
	ds_write_b64 v20, v[188:189] offset:30464                  // 00000000A9C0: D89A7700 0000BC14
	ds_write_b64 v20, v[192:193] offset:34816                  // 00000000A9C8: D89A8800 0000C014
	ds_write_b64 v20, v[196:197] offset:2176                   // 00000000A9D0: D89A0880 0000C414
	ds_write_b64 v20, v[200:201] offset:6528                   // 00000000A9D8: D89A1980 0000C814
	ds_write_b64 v20, v[204:205] offset:10880                  // 00000000A9E0: D89A2A80 0000CC14
	ds_write_b64 v20, v[208:209] offset:15232                  // 00000000A9E8: D89A3B80 0000D014
	ds_write_b64 v20, v[212:213] offset:19584                  // 00000000A9F0: D89A4C80 0000D414
	ds_write_b64 v20, v[216:217] offset:23936                  // 00000000A9F8: D89A5D80 0000D814
	ds_write_b64 v20, v[220:221] offset:28288                  // 00000000AA00: D89A6E80 0000DC14
	ds_write_b64 v20, v[224:225] offset:32640                  // 00000000AA08: D89A7F80 0000E014
	ds_write_b64 v20, v[228:229] offset:36992                  // 00000000AA10: D89A9080 0000E414
	s_waitcnt lgkmcnt(0)                                       // 00000000AA18: BF8CC07F
	s_barrier                                                  // 00000000AA1C: BF8A0000
	ds_read_b32 v160, v21                                      // 00000000AA20: D86C0000 A0000015
	ds_read_b32 v161, v21 offset:64                            // 00000000AA28: D86C0040 A1000015
	ds_read_b32 v164, v21 offset:2176                          // 00000000AA30: D86C0880 A4000015
	ds_read_b32 v165, v21 offset:2240                          // 00000000AA38: D86C08C0 A5000015
	ds_read_b32 v168, v21 offset:4352                          // 00000000AA40: D86C1100 A8000015
	ds_read_b32 v169, v21 offset:4416                          // 00000000AA48: D86C1140 A9000015
	ds_read_b32 v172, v21 offset:6528                          // 00000000AA50: D86C1980 AC000015
	ds_read_b32 v173, v21 offset:6592                          // 00000000AA58: D86C19C0 AD000015
	ds_read_b32 v176, v21 offset:8704                          // 00000000AA60: D86C2200 B0000015
	ds_read_b32 v177, v21 offset:8768                          // 00000000AA68: D86C2240 B1000015
	ds_read_b32 v180, v21 offset:10880                         // 00000000AA70: D86C2A80 B4000015
	ds_read_b32 v181, v21 offset:10944                         // 00000000AA78: D86C2AC0 B5000015
	ds_read_b32 v184, v21 offset:13056                         // 00000000AA80: D86C3300 B8000015
	ds_read_b32 v185, v21 offset:13120                         // 00000000AA88: D86C3340 B9000015
	ds_read_b32 v188, v21 offset:15232                         // 00000000AA90: D86C3B80 BC000015
	ds_read_b32 v189, v21 offset:15296                         // 00000000AA98: D86C3BC0 BD000015
	ds_read_b32 v192, v21 offset:17408                         // 00000000AAA0: D86C4400 C0000015
	ds_read_b32 v193, v21 offset:17472                         // 00000000AAA8: D86C4440 C1000015
	ds_read_b32 v196, v21 offset:19584                         // 00000000AAB0: D86C4C80 C4000015
	ds_read_b32 v197, v21 offset:19648                         // 00000000AAB8: D86C4CC0 C5000015
	ds_read_b32 v200, v21 offset:21760                         // 00000000AAC0: D86C5500 C8000015
	ds_read_b32 v201, v21 offset:21824                         // 00000000AAC8: D86C5540 C9000015
	ds_read_b32 v204, v21 offset:23936                         // 00000000AAD0: D86C5D80 CC000015
	ds_read_b32 v205, v21 offset:24000                         // 00000000AAD8: D86C5DC0 CD000015
	ds_read_b32 v208, v21 offset:26112                         // 00000000AAE0: D86C6600 D0000015
	ds_read_b32 v209, v21 offset:26176                         // 00000000AAE8: D86C6640 D1000015
	ds_read_b32 v212, v21 offset:28288                         // 00000000AAF0: D86C6E80 D4000015
	ds_read_b32 v213, v21 offset:28352                         // 00000000AAF8: D86C6EC0 D5000015
	ds_read_b32 v216, v21 offset:30464                         // 00000000AB00: D86C7700 D8000015
	ds_read_b32 v217, v21 offset:30528                         // 00000000AB08: D86C7740 D9000015
	ds_read_b32 v220, v21 offset:32640                         // 00000000AB10: D86C7F80 DC000015
	ds_read_b32 v221, v21 offset:32704                         // 00000000AB18: D86C7FC0 DD000015
	ds_read_b32 v224, v21 offset:34816                         // 00000000AB20: D86C8800 E0000015
	ds_read_b32 v225, v21 offset:34880                         // 00000000AB28: D86C8840 E1000015
	ds_read_b32 v228, v21 offset:36992                         // 00000000AB30: D86C9080 E4000015
	ds_read_b32 v229, v21 offset:37056                         // 00000000AB38: D86C90C0 E5000015
	s_mul_i32 s60, s65, 4                                      // 00000000AB40: 923C8441
	s_add_u32 s8, s60, s8                                      // 00000000AB44: 8008083C
	s_addc_u32 s9, 0, s9                                       // 00000000AB48: 82090980
	s_waitcnt lgkmcnt(0)                                       // 00000000AB4C: BF8CC07F
	v_mov_b32_e32 v7, 0                                        // 00000000AB50: 7E0E0280
	s_mov_b64 exec, s[36:37]                                   // 00000000AB54: BEFE0124
	v_mov_b32_e32 v6, v66                                      // 00000000AB58: 7E0C0342
	s_mov_b64 s[60:61], 0                                      // 00000000AB5C: BEBC0180
	v_readlane_b32 s82, v3, 0                                  // 00000000AB60: D2890052 00010103
	s_and_b32 s82, s82, 0xffffff                               // 00000000AB68: 8652FF52 00FFFFFF
	s_cmp_lt_u32 s82, s66                                      // 00000000AB70: BF0A4252
	s_cselect_b32 s20, s36, s60                                // 00000000AB74: 85143C24
	v_readlane_b32 s82, v3, 1                                  // 00000000AB78: D2890052 00010303
	s_and_b32 s82, s82, 0xffffff                               // 00000000AB80: 8652FF52 00FFFFFF
	s_cmp_lt_u32 s82, s66                                      // 00000000AB88: BF0A4252
	s_cselect_b32 s21, s36, s60                                // 00000000AB8C: 85153C24
	s_mov_b64 exec, s[20:21]                                   // 00000000AB90: BEFE0114
	global_atomic_add_f32 v6, v160, s[8:9]                     // 00000000AB94: DD348000 0008A006
	global_atomic_add_f32 v6, v164, s[8:9] offset:256          // 00000000AB9C: DD348100 0008A406
	s_mov_b64 exec, s[36:37]                                   // 00000000ABA4: BEFE0124
	v_mov_b32_e32 v6, v67                                      // 00000000ABA8: 7E0C0343
	s_mov_b64 s[60:61], 0                                      // 00000000ABAC: BEBC0180
	v_readlane_b32 s82, v3, 2                                  // 00000000ABB0: D2890052 00010503
	s_and_b32 s82, s82, 0xffffff                               // 00000000ABB8: 8652FF52 00FFFFFF
	s_cmp_lt_u32 s82, s66                                      // 00000000ABC0: BF0A4252
	s_cselect_b32 s20, s36, s60                                // 00000000ABC4: 85143C24
	v_readlane_b32 s82, v3, 3                                  // 00000000ABC8: D2890052 00010703
	s_and_b32 s82, s82, 0xffffff                               // 00000000ABD0: 8652FF52 00FFFFFF
	s_cmp_lt_u32 s82, s66                                      // 00000000ABD8: BF0A4252
	s_cselect_b32 s21, s36, s60                                // 00000000ABDC: 85153C24
	s_mov_b64 exec, s[20:21]                                   // 00000000ABE0: BEFE0114
	global_atomic_add_f32 v6, v161, s[8:9]                     // 00000000ABE4: DD348000 0008A106
	global_atomic_add_f32 v6, v165, s[8:9] offset:256          // 00000000ABEC: DD348100 0008A506
	s_mov_b64 exec, s[36:37]                                   // 00000000ABF4: BEFE0124
	v_mov_b32_e32 v6, v68                                      // 00000000ABF8: 7E0C0344
	s_mov_b64 s[60:61], 0                                      // 00000000ABFC: BEBC0180
	v_readlane_b32 s82, v3, 4                                  // 00000000AC00: D2890052 00010903
	s_and_b32 s82, s82, 0xffffff                               // 00000000AC08: 8652FF52 00FFFFFF
	s_cmp_lt_u32 s82, s66                                      // 00000000AC10: BF0A4252
	s_cselect_b32 s20, s36, s60                                // 00000000AC14: 85143C24
	v_readlane_b32 s82, v3, 5                                  // 00000000AC18: D2890052 00010B03
	s_and_b32 s82, s82, 0xffffff                               // 00000000AC20: 8652FF52 00FFFFFF
	s_cmp_lt_u32 s82, s66                                      // 00000000AC28: BF0A4252
	s_cselect_b32 s21, s36, s60                                // 00000000AC2C: 85153C24
	s_mov_b64 exec, s[20:21]                                   // 00000000AC30: BEFE0114
	global_atomic_add_f32 v6, v168, s[8:9]                     // 00000000AC34: DD348000 0008A806
	global_atomic_add_f32 v6, v172, s[8:9] offset:256          // 00000000AC3C: DD348100 0008AC06
	s_mov_b64 exec, s[36:37]                                   // 00000000AC44: BEFE0124
	v_mov_b32_e32 v6, v69                                      // 00000000AC48: 7E0C0345
	s_mov_b64 s[60:61], 0                                      // 00000000AC4C: BEBC0180
	v_readlane_b32 s82, v3, 6                                  // 00000000AC50: D2890052 00010D03
	s_and_b32 s82, s82, 0xffffff                               // 00000000AC58: 8652FF52 00FFFFFF
	s_cmp_lt_u32 s82, s66                                      // 00000000AC60: BF0A4252
	s_cselect_b32 s20, s36, s60                                // 00000000AC64: 85143C24
	v_readlane_b32 s82, v3, 7                                  // 00000000AC68: D2890052 00010F03
	s_and_b32 s82, s82, 0xffffff                               // 00000000AC70: 8652FF52 00FFFFFF
	s_cmp_lt_u32 s82, s66                                      // 00000000AC78: BF0A4252
	s_cselect_b32 s21, s36, s60                                // 00000000AC7C: 85153C24
	s_mov_b64 exec, s[20:21]                                   // 00000000AC80: BEFE0114
	global_atomic_add_f32 v6, v169, s[8:9]                     // 00000000AC84: DD348000 0008A906
	global_atomic_add_f32 v6, v173, s[8:9] offset:256          // 00000000AC8C: DD348100 0008AD06
	s_mov_b64 exec, s[36:37]                                   // 00000000AC94: BEFE0124
	v_mov_b32_e32 v6, v70                                      // 00000000AC98: 7E0C0346
	s_mov_b64 s[60:61], 0                                      // 00000000AC9C: BEBC0180
	v_readlane_b32 s82, v3, 8                                  // 00000000ACA0: D2890052 00011103
	s_and_b32 s82, s82, 0xffffff                               // 00000000ACA8: 8652FF52 00FFFFFF
	s_cmp_lt_u32 s82, s66                                      // 00000000ACB0: BF0A4252
	s_cselect_b32 s20, s36, s60                                // 00000000ACB4: 85143C24
	v_readlane_b32 s82, v3, 9                                  // 00000000ACB8: D2890052 00011303
	s_and_b32 s82, s82, 0xffffff                               // 00000000ACC0: 8652FF52 00FFFFFF
	s_cmp_lt_u32 s82, s66                                      // 00000000ACC8: BF0A4252
	s_cselect_b32 s21, s36, s60                                // 00000000ACCC: 85153C24
	s_mov_b64 exec, s[20:21]                                   // 00000000ACD0: BEFE0114
	global_atomic_add_f32 v6, v176, s[8:9]                     // 00000000ACD4: DD348000 0008B006
	global_atomic_add_f32 v6, v180, s[8:9] offset:256          // 00000000ACDC: DD348100 0008B406
	s_mov_b64 exec, s[36:37]                                   // 00000000ACE4: BEFE0124
	v_mov_b32_e32 v6, v71                                      // 00000000ACE8: 7E0C0347
	s_mov_b64 s[60:61], 0                                      // 00000000ACEC: BEBC0180
	v_readlane_b32 s82, v3, 10                                 // 00000000ACF0: D2890052 00011503
	s_and_b32 s82, s82, 0xffffff                               // 00000000ACF8: 8652FF52 00FFFFFF
	s_cmp_lt_u32 s82, s66                                      // 00000000AD00: BF0A4252
	s_cselect_b32 s20, s36, s60                                // 00000000AD04: 85143C24
	v_readlane_b32 s82, v3, 11                                 // 00000000AD08: D2890052 00011703
	s_and_b32 s82, s82, 0xffffff                               // 00000000AD10: 8652FF52 00FFFFFF
	s_cmp_lt_u32 s82, s66                                      // 00000000AD18: BF0A4252
	s_cselect_b32 s21, s36, s60                                // 00000000AD1C: 85153C24
	s_mov_b64 exec, s[20:21]                                   // 00000000AD20: BEFE0114
	global_atomic_add_f32 v6, v177, s[8:9]                     // 00000000AD24: DD348000 0008B106
	global_atomic_add_f32 v6, v181, s[8:9] offset:256          // 00000000AD2C: DD348100 0008B506
	s_mov_b64 exec, s[36:37]                                   // 00000000AD34: BEFE0124
	v_mov_b32_e32 v6, v72                                      // 00000000AD38: 7E0C0348
	s_mov_b64 s[60:61], 0                                      // 00000000AD3C: BEBC0180
	v_readlane_b32 s82, v3, 12                                 // 00000000AD40: D2890052 00011903
	s_and_b32 s82, s82, 0xffffff                               // 00000000AD48: 8652FF52 00FFFFFF
	s_cmp_lt_u32 s82, s66                                      // 00000000AD50: BF0A4252
	s_cselect_b32 s20, s36, s60                                // 00000000AD54: 85143C24
	v_readlane_b32 s82, v3, 13                                 // 00000000AD58: D2890052 00011B03
	s_and_b32 s82, s82, 0xffffff                               // 00000000AD60: 8652FF52 00FFFFFF
	s_cmp_lt_u32 s82, s66                                      // 00000000AD68: BF0A4252
	s_cselect_b32 s21, s36, s60                                // 00000000AD6C: 85153C24
	s_mov_b64 exec, s[20:21]                                   // 00000000AD70: BEFE0114
	global_atomic_add_f32 v6, v184, s[8:9]                     // 00000000AD74: DD348000 0008B806
	global_atomic_add_f32 v6, v188, s[8:9] offset:256          // 00000000AD7C: DD348100 0008BC06
	s_mov_b64 exec, s[36:37]                                   // 00000000AD84: BEFE0124
	v_mov_b32_e32 v6, v73                                      // 00000000AD88: 7E0C0349
	s_mov_b64 s[60:61], 0                                      // 00000000AD8C: BEBC0180
	v_readlane_b32 s82, v3, 14                                 // 00000000AD90: D2890052 00011D03
	s_and_b32 s82, s82, 0xffffff                               // 00000000AD98: 8652FF52 00FFFFFF
	s_cmp_lt_u32 s82, s66                                      // 00000000ADA0: BF0A4252
	s_cselect_b32 s20, s36, s60                                // 00000000ADA4: 85143C24
	v_readlane_b32 s82, v3, 15                                 // 00000000ADA8: D2890052 00011F03
	s_and_b32 s82, s82, 0xffffff                               // 00000000ADB0: 8652FF52 00FFFFFF
	s_cmp_lt_u32 s82, s66                                      // 00000000ADB8: BF0A4252
	s_cselect_b32 s21, s36, s60                                // 00000000ADBC: 85153C24
	s_mov_b64 exec, s[20:21]                                   // 00000000ADC0: BEFE0114
	global_atomic_add_f32 v6, v185, s[8:9]                     // 00000000ADC4: DD348000 0008B906
	global_atomic_add_f32 v6, v189, s[8:9] offset:256          // 00000000ADCC: DD348100 0008BD06
	s_mov_b64 exec, s[36:37]                                   // 00000000ADD4: BEFE0124
	v_mov_b32_e32 v6, v74                                      // 00000000ADD8: 7E0C034A
	s_mov_b64 s[60:61], 0                                      // 00000000ADDC: BEBC0180
	v_readlane_b32 s82, v3, 16                                 // 00000000ADE0: D2890052 00012103
	s_and_b32 s82, s82, 0xffffff                               // 00000000ADE8: 8652FF52 00FFFFFF
	s_cmp_lt_u32 s82, s66                                      // 00000000ADF0: BF0A4252
	s_cselect_b32 s20, s36, s60                                // 00000000ADF4: 85143C24
	v_readlane_b32 s82, v3, 17                                 // 00000000ADF8: D2890052 00012303
	s_and_b32 s82, s82, 0xffffff                               // 00000000AE00: 8652FF52 00FFFFFF
	s_cmp_lt_u32 s82, s66                                      // 00000000AE08: BF0A4252
	s_cselect_b32 s21, s36, s60                                // 00000000AE0C: 85153C24
	s_mov_b64 exec, s[20:21]                                   // 00000000AE10: BEFE0114
	global_atomic_add_f32 v6, v192, s[8:9]                     // 00000000AE14: DD348000 0008C006
	global_atomic_add_f32 v6, v196, s[8:9] offset:256          // 00000000AE1C: DD348100 0008C406
	s_mov_b64 exec, s[36:37]                                   // 00000000AE24: BEFE0124
	v_mov_b32_e32 v6, v75                                      // 00000000AE28: 7E0C034B
	s_mov_b64 s[60:61], 0                                      // 00000000AE2C: BEBC0180
	v_readlane_b32 s82, v3, 18                                 // 00000000AE30: D2890052 00012503
	s_and_b32 s82, s82, 0xffffff                               // 00000000AE38: 8652FF52 00FFFFFF
	s_cmp_lt_u32 s82, s66                                      // 00000000AE40: BF0A4252
	s_cselect_b32 s20, s36, s60                                // 00000000AE44: 85143C24
	v_readlane_b32 s82, v3, 19                                 // 00000000AE48: D2890052 00012703
	s_and_b32 s82, s82, 0xffffff                               // 00000000AE50: 8652FF52 00FFFFFF
	s_cmp_lt_u32 s82, s66                                      // 00000000AE58: BF0A4252
	s_cselect_b32 s21, s36, s60                                // 00000000AE5C: 85153C24
	s_mov_b64 exec, s[20:21]                                   // 00000000AE60: BEFE0114
	global_atomic_add_f32 v6, v193, s[8:9]                     // 00000000AE64: DD348000 0008C106
	global_atomic_add_f32 v6, v197, s[8:9] offset:256          // 00000000AE6C: DD348100 0008C506
	s_mov_b64 exec, s[36:37]                                   // 00000000AE74: BEFE0124
	v_mov_b32_e32 v6, v76                                      // 00000000AE78: 7E0C034C
	s_mov_b64 s[60:61], 0                                      // 00000000AE7C: BEBC0180
	v_readlane_b32 s82, v3, 20                                 // 00000000AE80: D2890052 00012903
	s_and_b32 s82, s82, 0xffffff                               // 00000000AE88: 8652FF52 00FFFFFF
	s_cmp_lt_u32 s82, s66                                      // 00000000AE90: BF0A4252
	s_cselect_b32 s20, s36, s60                                // 00000000AE94: 85143C24
	v_readlane_b32 s82, v3, 21                                 // 00000000AE98: D2890052 00012B03
	s_and_b32 s82, s82, 0xffffff                               // 00000000AEA0: 8652FF52 00FFFFFF
	s_cmp_lt_u32 s82, s66                                      // 00000000AEA8: BF0A4252
	s_cselect_b32 s21, s36, s60                                // 00000000AEAC: 85153C24
	s_mov_b64 exec, s[20:21]                                   // 00000000AEB0: BEFE0114
	global_atomic_add_f32 v6, v200, s[8:9]                     // 00000000AEB4: DD348000 0008C806
	global_atomic_add_f32 v6, v204, s[8:9] offset:256          // 00000000AEBC: DD348100 0008CC06
	s_mov_b64 exec, s[36:37]                                   // 00000000AEC4: BEFE0124
	v_mov_b32_e32 v6, v77                                      // 00000000AEC8: 7E0C034D
	s_mov_b64 s[60:61], 0                                      // 00000000AECC: BEBC0180
	v_readlane_b32 s82, v3, 22                                 // 00000000AED0: D2890052 00012D03
	s_and_b32 s82, s82, 0xffffff                               // 00000000AED8: 8652FF52 00FFFFFF
	s_cmp_lt_u32 s82, s66                                      // 00000000AEE0: BF0A4252
	s_cselect_b32 s20, s36, s60                                // 00000000AEE4: 85143C24
	v_readlane_b32 s82, v3, 23                                 // 00000000AEE8: D2890052 00012F03
	s_and_b32 s82, s82, 0xffffff                               // 00000000AEF0: 8652FF52 00FFFFFF
	s_cmp_lt_u32 s82, s66                                      // 00000000AEF8: BF0A4252
	s_cselect_b32 s21, s36, s60                                // 00000000AEFC: 85153C24
	s_mov_b64 exec, s[20:21]                                   // 00000000AF00: BEFE0114
	global_atomic_add_f32 v6, v201, s[8:9]                     // 00000000AF04: DD348000 0008C906
	global_atomic_add_f32 v6, v205, s[8:9] offset:256          // 00000000AF0C: DD348100 0008CD06
	s_mov_b64 exec, s[36:37]                                   // 00000000AF14: BEFE0124
	v_mov_b32_e32 v6, v78                                      // 00000000AF18: 7E0C034E
	s_mov_b64 s[60:61], 0                                      // 00000000AF1C: BEBC0180
	v_readlane_b32 s82, v3, 24                                 // 00000000AF20: D2890052 00013103
	s_and_b32 s82, s82, 0xffffff                               // 00000000AF28: 8652FF52 00FFFFFF
	s_cmp_lt_u32 s82, s66                                      // 00000000AF30: BF0A4252
	s_cselect_b32 s20, s36, s60                                // 00000000AF34: 85143C24
	v_readlane_b32 s82, v3, 25                                 // 00000000AF38: D2890052 00013303
	s_and_b32 s82, s82, 0xffffff                               // 00000000AF40: 8652FF52 00FFFFFF
	s_cmp_lt_u32 s82, s66                                      // 00000000AF48: BF0A4252
	s_cselect_b32 s21, s36, s60                                // 00000000AF4C: 85153C24
	s_mov_b64 exec, s[20:21]                                   // 00000000AF50: BEFE0114
	global_atomic_add_f32 v6, v208, s[8:9]                     // 00000000AF54: DD348000 0008D006
	global_atomic_add_f32 v6, v212, s[8:9] offset:256          // 00000000AF5C: DD348100 0008D406
	s_mov_b64 exec, s[36:37]                                   // 00000000AF64: BEFE0124
	v_mov_b32_e32 v6, v79                                      // 00000000AF68: 7E0C034F
	s_mov_b64 s[60:61], 0                                      // 00000000AF6C: BEBC0180
	v_readlane_b32 s82, v3, 26                                 // 00000000AF70: D2890052 00013503
	s_and_b32 s82, s82, 0xffffff                               // 00000000AF78: 8652FF52 00FFFFFF
	s_cmp_lt_u32 s82, s66                                      // 00000000AF80: BF0A4252
	s_cselect_b32 s20, s36, s60                                // 00000000AF84: 85143C24
	v_readlane_b32 s82, v3, 27                                 // 00000000AF88: D2890052 00013703
	s_and_b32 s82, s82, 0xffffff                               // 00000000AF90: 8652FF52 00FFFFFF
	s_cmp_lt_u32 s82, s66                                      // 00000000AF98: BF0A4252
	s_cselect_b32 s21, s36, s60                                // 00000000AF9C: 85153C24
	s_mov_b64 exec, s[20:21]                                   // 00000000AFA0: BEFE0114
	global_atomic_add_f32 v6, v209, s[8:9]                     // 00000000AFA4: DD348000 0008D106
	global_atomic_add_f32 v6, v213, s[8:9] offset:256          // 00000000AFAC: DD348100 0008D506
	s_mov_b64 exec, s[36:37]                                   // 00000000AFB4: BEFE0124
	v_mov_b32_e32 v6, v80                                      // 00000000AFB8: 7E0C0350
	s_mov_b64 s[60:61], 0                                      // 00000000AFBC: BEBC0180
	v_readlane_b32 s82, v3, 28                                 // 00000000AFC0: D2890052 00013903
	s_and_b32 s82, s82, 0xffffff                               // 00000000AFC8: 8652FF52 00FFFFFF
	s_cmp_lt_u32 s82, s66                                      // 00000000AFD0: BF0A4252
	s_cselect_b32 s20, s36, s60                                // 00000000AFD4: 85143C24
	v_readlane_b32 s82, v3, 29                                 // 00000000AFD8: D2890052 00013B03
	s_and_b32 s82, s82, 0xffffff                               // 00000000AFE0: 8652FF52 00FFFFFF
	s_cmp_lt_u32 s82, s66                                      // 00000000AFE8: BF0A4252
	s_cselect_b32 s21, s36, s60                                // 00000000AFEC: 85153C24
	s_mov_b64 exec, s[20:21]                                   // 00000000AFF0: BEFE0114
	global_atomic_add_f32 v6, v216, s[8:9]                     // 00000000AFF4: DD348000 0008D806
	global_atomic_add_f32 v6, v220, s[8:9] offset:256          // 00000000AFFC: DD348100 0008DC06
	s_mov_b64 exec, s[36:37]                                   // 00000000B004: BEFE0124
	v_mov_b32_e32 v6, v81                                      // 00000000B008: 7E0C0351
	s_mov_b64 s[60:61], 0                                      // 00000000B00C: BEBC0180
	v_readlane_b32 s82, v3, 30                                 // 00000000B010: D2890052 00013D03
	s_and_b32 s82, s82, 0xffffff                               // 00000000B018: 8652FF52 00FFFFFF
	s_cmp_lt_u32 s82, s66                                      // 00000000B020: BF0A4252
	s_cselect_b32 s20, s36, s60                                // 00000000B024: 85143C24
	v_readlane_b32 s82, v3, 31                                 // 00000000B028: D2890052 00013F03
	s_and_b32 s82, s82, 0xffffff                               // 00000000B030: 8652FF52 00FFFFFF
	s_cmp_lt_u32 s82, s66                                      // 00000000B038: BF0A4252
	s_cselect_b32 s21, s36, s60                                // 00000000B03C: 85153C24
	s_mov_b64 exec, s[20:21]                                   // 00000000B040: BEFE0114
	global_atomic_add_f32 v6, v217, s[8:9]                     // 00000000B044: DD348000 0008D906
	global_atomic_add_f32 v6, v221, s[8:9] offset:256          // 00000000B04C: DD348100 0008DD06
	s_mov_b64 exec, s[36:37]                                   // 00000000B054: BEFE0124
	v_mov_b32_e32 v6, v82                                      // 00000000B058: 7E0C0352
	s_mov_b64 s[60:61], 0                                      // 00000000B05C: BEBC0180
	v_readlane_b32 s82, v3, 32                                 // 00000000B060: D2890052 00014103
	s_and_b32 s82, s82, 0xffffff                               // 00000000B068: 8652FF52 00FFFFFF
	s_cmp_lt_u32 s82, s66                                      // 00000000B070: BF0A4252
	s_cselect_b32 s20, s36, s60                                // 00000000B074: 85143C24
	v_readlane_b32 s82, v3, 33                                 // 00000000B078: D2890052 00014303
	s_and_b32 s82, s82, 0xffffff                               // 00000000B080: 8652FF52 00FFFFFF
	s_cmp_lt_u32 s82, s66                                      // 00000000B088: BF0A4252
	s_cselect_b32 s21, s36, s60                                // 00000000B08C: 85153C24
	s_mov_b64 exec, s[20:21]                                   // 00000000B090: BEFE0114
	global_atomic_add_f32 v6, v224, s[8:9]                     // 00000000B094: DD348000 0008E006
	global_atomic_add_f32 v6, v228, s[8:9] offset:256          // 00000000B09C: DD348100 0008E406
	s_mov_b64 exec, s[36:37]                                   // 00000000B0A4: BEFE0124
	v_mov_b32_e32 v6, v83                                      // 00000000B0A8: 7E0C0353
	s_mov_b64 s[60:61], 0                                      // 00000000B0AC: BEBC0180
	v_readlane_b32 s82, v3, 34                                 // 00000000B0B0: D2890052 00014503
	s_and_b32 s82, s82, 0xffffff                               // 00000000B0B8: 8652FF52 00FFFFFF
	s_cmp_lt_u32 s82, s66                                      // 00000000B0C0: BF0A4252
	s_cselect_b32 s20, s36, s60                                // 00000000B0C4: 85143C24
	v_readlane_b32 s82, v3, 35                                 // 00000000B0C8: D2890052 00014703
	s_and_b32 s82, s82, 0xffffff                               // 00000000B0D0: 8652FF52 00FFFFFF
	s_cmp_lt_u32 s82, s66                                      // 00000000B0D8: BF0A4252
	s_cselect_b32 s21, s36, s60                                // 00000000B0DC: 85153C24
	s_mov_b64 exec, s[20:21]                                   // 00000000B0E0: BEFE0114
	global_atomic_add_f32 v6, v225, s[8:9]                     // 00000000B0E4: DD348000 0008E106
	global_atomic_add_f32 v6, v229, s[8:9] offset:256          // 00000000B0EC: DD348100 0008E506
	s_mov_b64 exec, s[36:37]                                   // 00000000B0F4: BEFE0124
	ds_write_b64 v20, v[162:163]                               // 00000000B0F8: D89A0000 0000A214
	ds_write_b64 v20, v[166:167] offset:4352                   // 00000000B100: D89A1100 0000A614
	ds_write_b64 v20, v[170:171] offset:8704                   // 00000000B108: D89A2200 0000AA14
	ds_write_b64 v20, v[174:175] offset:13056                  // 00000000B110: D89A3300 0000AE14
	ds_write_b64 v20, v[178:179] offset:17408                  // 00000000B118: D89A4400 0000B214
	ds_write_b64 v20, v[182:183] offset:21760                  // 00000000B120: D89A5500 0000B614
	ds_write_b64 v20, v[186:187] offset:26112                  // 00000000B128: D89A6600 0000BA14
	ds_write_b64 v20, v[190:191] offset:30464                  // 00000000B130: D89A7700 0000BE14
	ds_write_b64 v20, v[194:195] offset:34816                  // 00000000B138: D89A8800 0000C214
	ds_write_b64 v20, v[198:199] offset:2176                   // 00000000B140: D89A0880 0000C614
	ds_write_b64 v20, v[202:203] offset:6528                   // 00000000B148: D89A1980 0000CA14
	ds_write_b64 v20, v[206:207] offset:10880                  // 00000000B150: D89A2A80 0000CE14
	ds_write_b64 v20, v[210:211] offset:15232                  // 00000000B158: D89A3B80 0000D214
	ds_write_b64 v20, v[214:215] offset:19584                  // 00000000B160: D89A4C80 0000D614
	ds_write_b64 v20, v[218:219] offset:23936                  // 00000000B168: D89A5D80 0000DA14
	ds_write_b64 v20, v[222:223] offset:28288                  // 00000000B170: D89A6E80 0000DE14
	ds_write_b64 v20, v[226:227] offset:32640                  // 00000000B178: D89A7F80 0000E214
	ds_write_b64 v20, v[230:231] offset:36992                  // 00000000B180: D89A9080 0000E614
	s_waitcnt lgkmcnt(0)                                       // 00000000B188: BF8CC07F
	s_barrier                                                  // 00000000B18C: BF8A0000
	ds_read_b32 v162, v21                                      // 00000000B190: D86C0000 A2000015
	ds_read_b32 v163, v21 offset:64                            // 00000000B198: D86C0040 A3000015
	ds_read_b32 v166, v21 offset:2176                          // 00000000B1A0: D86C0880 A6000015
	ds_read_b32 v167, v21 offset:2240                          // 00000000B1A8: D86C08C0 A7000015
	ds_read_b32 v170, v21 offset:4352                          // 00000000B1B0: D86C1100 AA000015
	ds_read_b32 v171, v21 offset:4416                          // 00000000B1B8: D86C1140 AB000015
	ds_read_b32 v174, v21 offset:6528                          // 00000000B1C0: D86C1980 AE000015
	ds_read_b32 v175, v21 offset:6592                          // 00000000B1C8: D86C19C0 AF000015
	ds_read_b32 v178, v21 offset:8704                          // 00000000B1D0: D86C2200 B2000015
	ds_read_b32 v179, v21 offset:8768                          // 00000000B1D8: D86C2240 B3000015
	ds_read_b32 v182, v21 offset:10880                         // 00000000B1E0: D86C2A80 B6000015
	ds_read_b32 v183, v21 offset:10944                         // 00000000B1E8: D86C2AC0 B7000015
	ds_read_b32 v186, v21 offset:13056                         // 00000000B1F0: D86C3300 BA000015
	ds_read_b32 v187, v21 offset:13120                         // 00000000B1F8: D86C3340 BB000015
	ds_read_b32 v190, v21 offset:15232                         // 00000000B200: D86C3B80 BE000015
	ds_read_b32 v191, v21 offset:15296                         // 00000000B208: D86C3BC0 BF000015
	ds_read_b32 v194, v21 offset:17408                         // 00000000B210: D86C4400 C2000015
	ds_read_b32 v195, v21 offset:17472                         // 00000000B218: D86C4440 C3000015
	ds_read_b32 v198, v21 offset:19584                         // 00000000B220: D86C4C80 C6000015
	ds_read_b32 v199, v21 offset:19648                         // 00000000B228: D86C4CC0 C7000015
	ds_read_b32 v202, v21 offset:21760                         // 00000000B230: D86C5500 CA000015
	ds_read_b32 v203, v21 offset:21824                         // 00000000B238: D86C5540 CB000015
	ds_read_b32 v206, v21 offset:23936                         // 00000000B240: D86C5D80 CE000015
	ds_read_b32 v207, v21 offset:24000                         // 00000000B248: D86C5DC0 CF000015
	ds_read_b32 v210, v21 offset:26112                         // 00000000B250: D86C6600 D2000015
	ds_read_b32 v211, v21 offset:26176                         // 00000000B258: D86C6640 D3000015
	ds_read_b32 v214, v21 offset:28288                         // 00000000B260: D86C6E80 D6000015
	ds_read_b32 v215, v21 offset:28352                         // 00000000B268: D86C6EC0 D7000015
	ds_read_b32 v218, v21 offset:30464                         // 00000000B270: D86C7700 DA000015
	ds_read_b32 v219, v21 offset:30528                         // 00000000B278: D86C7740 DB000015
	ds_read_b32 v222, v21 offset:32640                         // 00000000B280: D86C7F80 DE000015
	ds_read_b32 v223, v21 offset:32704                         // 00000000B288: D86C7FC0 DF000015
	ds_read_b32 v226, v21 offset:34816                         // 00000000B290: D86C8800 E2000015
	ds_read_b32 v227, v21 offset:34880                         // 00000000B298: D86C8840 E3000015
	ds_read_b32 v230, v21 offset:36992                         // 00000000B2A0: D86C9080 E6000015
	ds_read_b32 v231, v21 offset:37056                         // 00000000B2A8: D86C90C0 E7000015
	s_waitcnt lgkmcnt(0)                                       // 00000000B2B0: BF8CC07F
	v_mov_b32_e32 v7, 0                                        // 00000000B2B4: 7E0E0280
	s_mov_b64 exec, s[36:37]                                   // 00000000B2B8: BEFE0124
	v_mov_b32_e32 v6, v66                                      // 00000000B2BC: 7E0C0342
	s_mov_b64 s[60:61], 0                                      // 00000000B2C0: BEBC0180
	v_readlane_b32 s82, v3, 0                                  // 00000000B2C4: D2890052 00010103
	s_and_b32 s82, s82, 0xffffff                               // 00000000B2CC: 8652FF52 00FFFFFF
	s_cmp_lt_u32 s82, s66                                      // 00000000B2D4: BF0A4252
	s_cselect_b32 s20, s36, s60                                // 00000000B2D8: 85143C24
	v_readlane_b32 s82, v3, 1                                  // 00000000B2DC: D2890052 00010303
	s_and_b32 s82, s82, 0xffffff                               // 00000000B2E4: 8652FF52 00FFFFFF
	s_cmp_lt_u32 s82, s66                                      // 00000000B2EC: BF0A4252
	s_cselect_b32 s21, s36, s60                                // 00000000B2F0: 85153C24
	s_mov_b64 exec, s[20:21]                                   // 00000000B2F4: BEFE0114
	global_atomic_add_f32 v6, v162, s[8:9] offset:8            // 00000000B2F8: DD348008 0008A206
	global_atomic_add_f32 v6, v166, s[8:9] offset:264          // 00000000B300: DD348108 0008A606
	s_mov_b64 exec, s[36:37]                                   // 00000000B308: BEFE0124
	v_mov_b32_e32 v6, v67                                      // 00000000B30C: 7E0C0343
	s_mov_b64 s[60:61], 0                                      // 00000000B310: BEBC0180
	v_readlane_b32 s82, v3, 2                                  // 00000000B314: D2890052 00010503
	s_and_b32 s82, s82, 0xffffff                               // 00000000B31C: 8652FF52 00FFFFFF
	s_cmp_lt_u32 s82, s66                                      // 00000000B324: BF0A4252
	s_cselect_b32 s20, s36, s60                                // 00000000B328: 85143C24
	v_readlane_b32 s82, v3, 3                                  // 00000000B32C: D2890052 00010703
	s_and_b32 s82, s82, 0xffffff                               // 00000000B334: 8652FF52 00FFFFFF
	s_cmp_lt_u32 s82, s66                                      // 00000000B33C: BF0A4252
	s_cselect_b32 s21, s36, s60                                // 00000000B340: 85153C24
	s_mov_b64 exec, s[20:21]                                   // 00000000B344: BEFE0114
	global_atomic_add_f32 v6, v163, s[8:9] offset:8            // 00000000B348: DD348008 0008A306
	global_atomic_add_f32 v6, v167, s[8:9] offset:264          // 00000000B350: DD348108 0008A706
	s_mov_b64 exec, s[36:37]                                   // 00000000B358: BEFE0124
	v_mov_b32_e32 v6, v68                                      // 00000000B35C: 7E0C0344
	s_mov_b64 s[60:61], 0                                      // 00000000B360: BEBC0180
	v_readlane_b32 s82, v3, 4                                  // 00000000B364: D2890052 00010903
	s_and_b32 s82, s82, 0xffffff                               // 00000000B36C: 8652FF52 00FFFFFF
	s_cmp_lt_u32 s82, s66                                      // 00000000B374: BF0A4252
	s_cselect_b32 s20, s36, s60                                // 00000000B378: 85143C24
	v_readlane_b32 s82, v3, 5                                  // 00000000B37C: D2890052 00010B03
	s_and_b32 s82, s82, 0xffffff                               // 00000000B384: 8652FF52 00FFFFFF
	s_cmp_lt_u32 s82, s66                                      // 00000000B38C: BF0A4252
	s_cselect_b32 s21, s36, s60                                // 00000000B390: 85153C24
	s_mov_b64 exec, s[20:21]                                   // 00000000B394: BEFE0114
	global_atomic_add_f32 v6, v170, s[8:9] offset:8            // 00000000B398: DD348008 0008AA06
	global_atomic_add_f32 v6, v174, s[8:9] offset:264          // 00000000B3A0: DD348108 0008AE06
	s_mov_b64 exec, s[36:37]                                   // 00000000B3A8: BEFE0124
	v_mov_b32_e32 v6, v69                                      // 00000000B3AC: 7E0C0345
	s_mov_b64 s[60:61], 0                                      // 00000000B3B0: BEBC0180
	v_readlane_b32 s82, v3, 6                                  // 00000000B3B4: D2890052 00010D03
	s_and_b32 s82, s82, 0xffffff                               // 00000000B3BC: 8652FF52 00FFFFFF
	s_cmp_lt_u32 s82, s66                                      // 00000000B3C4: BF0A4252
	s_cselect_b32 s20, s36, s60                                // 00000000B3C8: 85143C24
	v_readlane_b32 s82, v3, 7                                  // 00000000B3CC: D2890052 00010F03
	s_and_b32 s82, s82, 0xffffff                               // 00000000B3D4: 8652FF52 00FFFFFF
	s_cmp_lt_u32 s82, s66                                      // 00000000B3DC: BF0A4252
	s_cselect_b32 s21, s36, s60                                // 00000000B3E0: 85153C24
	s_mov_b64 exec, s[20:21]                                   // 00000000B3E4: BEFE0114
	global_atomic_add_f32 v6, v171, s[8:9] offset:8            // 00000000B3E8: DD348008 0008AB06
	global_atomic_add_f32 v6, v175, s[8:9] offset:264          // 00000000B3F0: DD348108 0008AF06
	s_mov_b64 exec, s[36:37]                                   // 00000000B3F8: BEFE0124
	v_mov_b32_e32 v6, v70                                      // 00000000B3FC: 7E0C0346
	s_mov_b64 s[60:61], 0                                      // 00000000B400: BEBC0180
	v_readlane_b32 s82, v3, 8                                  // 00000000B404: D2890052 00011103
	s_and_b32 s82, s82, 0xffffff                               // 00000000B40C: 8652FF52 00FFFFFF
	s_cmp_lt_u32 s82, s66                                      // 00000000B414: BF0A4252
	s_cselect_b32 s20, s36, s60                                // 00000000B418: 85143C24
	v_readlane_b32 s82, v3, 9                                  // 00000000B41C: D2890052 00011303
	s_and_b32 s82, s82, 0xffffff                               // 00000000B424: 8652FF52 00FFFFFF
	s_cmp_lt_u32 s82, s66                                      // 00000000B42C: BF0A4252
	s_cselect_b32 s21, s36, s60                                // 00000000B430: 85153C24
	s_mov_b64 exec, s[20:21]                                   // 00000000B434: BEFE0114
	global_atomic_add_f32 v6, v178, s[8:9] offset:8            // 00000000B438: DD348008 0008B206
	global_atomic_add_f32 v6, v182, s[8:9] offset:264          // 00000000B440: DD348108 0008B606
	s_mov_b64 exec, s[36:37]                                   // 00000000B448: BEFE0124
	v_mov_b32_e32 v6, v71                                      // 00000000B44C: 7E0C0347
	s_mov_b64 s[60:61], 0                                      // 00000000B450: BEBC0180
	v_readlane_b32 s82, v3, 10                                 // 00000000B454: D2890052 00011503
	s_and_b32 s82, s82, 0xffffff                               // 00000000B45C: 8652FF52 00FFFFFF
	s_cmp_lt_u32 s82, s66                                      // 00000000B464: BF0A4252
	s_cselect_b32 s20, s36, s60                                // 00000000B468: 85143C24
	v_readlane_b32 s82, v3, 11                                 // 00000000B46C: D2890052 00011703
	s_and_b32 s82, s82, 0xffffff                               // 00000000B474: 8652FF52 00FFFFFF
	s_cmp_lt_u32 s82, s66                                      // 00000000B47C: BF0A4252
	s_cselect_b32 s21, s36, s60                                // 00000000B480: 85153C24
	s_mov_b64 exec, s[20:21]                                   // 00000000B484: BEFE0114
	global_atomic_add_f32 v6, v179, s[8:9] offset:8            // 00000000B488: DD348008 0008B306
	global_atomic_add_f32 v6, v183, s[8:9] offset:264          // 00000000B490: DD348108 0008B706
	s_mov_b64 exec, s[36:37]                                   // 00000000B498: BEFE0124
	v_mov_b32_e32 v6, v72                                      // 00000000B49C: 7E0C0348
	s_mov_b64 s[60:61], 0                                      // 00000000B4A0: BEBC0180
	v_readlane_b32 s82, v3, 12                                 // 00000000B4A4: D2890052 00011903
	s_and_b32 s82, s82, 0xffffff                               // 00000000B4AC: 8652FF52 00FFFFFF
	s_cmp_lt_u32 s82, s66                                      // 00000000B4B4: BF0A4252
	s_cselect_b32 s20, s36, s60                                // 00000000B4B8: 85143C24
	v_readlane_b32 s82, v3, 13                                 // 00000000B4BC: D2890052 00011B03
	s_and_b32 s82, s82, 0xffffff                               // 00000000B4C4: 8652FF52 00FFFFFF
	s_cmp_lt_u32 s82, s66                                      // 00000000B4CC: BF0A4252
	s_cselect_b32 s21, s36, s60                                // 00000000B4D0: 85153C24
	s_mov_b64 exec, s[20:21]                                   // 00000000B4D4: BEFE0114
	global_atomic_add_f32 v6, v186, s[8:9] offset:8            // 00000000B4D8: DD348008 0008BA06
	global_atomic_add_f32 v6, v190, s[8:9] offset:264          // 00000000B4E0: DD348108 0008BE06
	s_mov_b64 exec, s[36:37]                                   // 00000000B4E8: BEFE0124
	v_mov_b32_e32 v6, v73                                      // 00000000B4EC: 7E0C0349
	s_mov_b64 s[60:61], 0                                      // 00000000B4F0: BEBC0180
	v_readlane_b32 s82, v3, 14                                 // 00000000B4F4: D2890052 00011D03
	s_and_b32 s82, s82, 0xffffff                               // 00000000B4FC: 8652FF52 00FFFFFF
	s_cmp_lt_u32 s82, s66                                      // 00000000B504: BF0A4252
	s_cselect_b32 s20, s36, s60                                // 00000000B508: 85143C24
	v_readlane_b32 s82, v3, 15                                 // 00000000B50C: D2890052 00011F03
	s_and_b32 s82, s82, 0xffffff                               // 00000000B514: 8652FF52 00FFFFFF
	s_cmp_lt_u32 s82, s66                                      // 00000000B51C: BF0A4252
	s_cselect_b32 s21, s36, s60                                // 00000000B520: 85153C24
	s_mov_b64 exec, s[20:21]                                   // 00000000B524: BEFE0114
	global_atomic_add_f32 v6, v187, s[8:9] offset:8            // 00000000B528: DD348008 0008BB06
	global_atomic_add_f32 v6, v191, s[8:9] offset:264          // 00000000B530: DD348108 0008BF06
	s_mov_b64 exec, s[36:37]                                   // 00000000B538: BEFE0124
	v_mov_b32_e32 v6, v74                                      // 00000000B53C: 7E0C034A
	s_mov_b64 s[60:61], 0                                      // 00000000B540: BEBC0180
	v_readlane_b32 s82, v3, 16                                 // 00000000B544: D2890052 00012103
	s_and_b32 s82, s82, 0xffffff                               // 00000000B54C: 8652FF52 00FFFFFF
	s_cmp_lt_u32 s82, s66                                      // 00000000B554: BF0A4252
	s_cselect_b32 s20, s36, s60                                // 00000000B558: 85143C24
	v_readlane_b32 s82, v3, 17                                 // 00000000B55C: D2890052 00012303
	s_and_b32 s82, s82, 0xffffff                               // 00000000B564: 8652FF52 00FFFFFF
	s_cmp_lt_u32 s82, s66                                      // 00000000B56C: BF0A4252
	s_cselect_b32 s21, s36, s60                                // 00000000B570: 85153C24
	s_mov_b64 exec, s[20:21]                                   // 00000000B574: BEFE0114
	global_atomic_add_f32 v6, v194, s[8:9] offset:8            // 00000000B578: DD348008 0008C206
	global_atomic_add_f32 v6, v198, s[8:9] offset:264          // 00000000B580: DD348108 0008C606
	s_mov_b64 exec, s[36:37]                                   // 00000000B588: BEFE0124
	v_mov_b32_e32 v6, v75                                      // 00000000B58C: 7E0C034B
	s_mov_b64 s[60:61], 0                                      // 00000000B590: BEBC0180
	v_readlane_b32 s82, v3, 18                                 // 00000000B594: D2890052 00012503
	s_and_b32 s82, s82, 0xffffff                               // 00000000B59C: 8652FF52 00FFFFFF
	s_cmp_lt_u32 s82, s66                                      // 00000000B5A4: BF0A4252
	s_cselect_b32 s20, s36, s60                                // 00000000B5A8: 85143C24
	v_readlane_b32 s82, v3, 19                                 // 00000000B5AC: D2890052 00012703
	s_and_b32 s82, s82, 0xffffff                               // 00000000B5B4: 8652FF52 00FFFFFF
	s_cmp_lt_u32 s82, s66                                      // 00000000B5BC: BF0A4252
	s_cselect_b32 s21, s36, s60                                // 00000000B5C0: 85153C24
	s_mov_b64 exec, s[20:21]                                   // 00000000B5C4: BEFE0114
	global_atomic_add_f32 v6, v195, s[8:9] offset:8            // 00000000B5C8: DD348008 0008C306
	global_atomic_add_f32 v6, v199, s[8:9] offset:264          // 00000000B5D0: DD348108 0008C706
	s_mov_b64 exec, s[36:37]                                   // 00000000B5D8: BEFE0124
	v_mov_b32_e32 v6, v76                                      // 00000000B5DC: 7E0C034C
	s_mov_b64 s[60:61], 0                                      // 00000000B5E0: BEBC0180
	v_readlane_b32 s82, v3, 20                                 // 00000000B5E4: D2890052 00012903
	s_and_b32 s82, s82, 0xffffff                               // 00000000B5EC: 8652FF52 00FFFFFF
	s_cmp_lt_u32 s82, s66                                      // 00000000B5F4: BF0A4252
	s_cselect_b32 s20, s36, s60                                // 00000000B5F8: 85143C24
	v_readlane_b32 s82, v3, 21                                 // 00000000B5FC: D2890052 00012B03
	s_and_b32 s82, s82, 0xffffff                               // 00000000B604: 8652FF52 00FFFFFF
	s_cmp_lt_u32 s82, s66                                      // 00000000B60C: BF0A4252
	s_cselect_b32 s21, s36, s60                                // 00000000B610: 85153C24
	s_mov_b64 exec, s[20:21]                                   // 00000000B614: BEFE0114
	global_atomic_add_f32 v6, v202, s[8:9] offset:8            // 00000000B618: DD348008 0008CA06
	global_atomic_add_f32 v6, v206, s[8:9] offset:264          // 00000000B620: DD348108 0008CE06
	s_mov_b64 exec, s[36:37]                                   // 00000000B628: BEFE0124
	v_mov_b32_e32 v6, v77                                      // 00000000B62C: 7E0C034D
	s_mov_b64 s[60:61], 0                                      // 00000000B630: BEBC0180
	v_readlane_b32 s82, v3, 22                                 // 00000000B634: D2890052 00012D03
	s_and_b32 s82, s82, 0xffffff                               // 00000000B63C: 8652FF52 00FFFFFF
	s_cmp_lt_u32 s82, s66                                      // 00000000B644: BF0A4252
	s_cselect_b32 s20, s36, s60                                // 00000000B648: 85143C24
	v_readlane_b32 s82, v3, 23                                 // 00000000B64C: D2890052 00012F03
	s_and_b32 s82, s82, 0xffffff                               // 00000000B654: 8652FF52 00FFFFFF
	s_cmp_lt_u32 s82, s66                                      // 00000000B65C: BF0A4252
	s_cselect_b32 s21, s36, s60                                // 00000000B660: 85153C24
	s_mov_b64 exec, s[20:21]                                   // 00000000B664: BEFE0114
	global_atomic_add_f32 v6, v203, s[8:9] offset:8            // 00000000B668: DD348008 0008CB06
	global_atomic_add_f32 v6, v207, s[8:9] offset:264          // 00000000B670: DD348108 0008CF06
	s_mov_b64 exec, s[36:37]                                   // 00000000B678: BEFE0124
	v_mov_b32_e32 v6, v78                                      // 00000000B67C: 7E0C034E
	s_mov_b64 s[60:61], 0                                      // 00000000B680: BEBC0180
	v_readlane_b32 s82, v3, 24                                 // 00000000B684: D2890052 00013103
	s_and_b32 s82, s82, 0xffffff                               // 00000000B68C: 8652FF52 00FFFFFF
	s_cmp_lt_u32 s82, s66                                      // 00000000B694: BF0A4252
	s_cselect_b32 s20, s36, s60                                // 00000000B698: 85143C24
	v_readlane_b32 s82, v3, 25                                 // 00000000B69C: D2890052 00013303
	s_and_b32 s82, s82, 0xffffff                               // 00000000B6A4: 8652FF52 00FFFFFF
	s_cmp_lt_u32 s82, s66                                      // 00000000B6AC: BF0A4252
	s_cselect_b32 s21, s36, s60                                // 00000000B6B0: 85153C24
	s_mov_b64 exec, s[20:21]                                   // 00000000B6B4: BEFE0114
	global_atomic_add_f32 v6, v210, s[8:9] offset:8            // 00000000B6B8: DD348008 0008D206
	global_atomic_add_f32 v6, v214, s[8:9] offset:264          // 00000000B6C0: DD348108 0008D606
	s_mov_b64 exec, s[36:37]                                   // 00000000B6C8: BEFE0124
	v_mov_b32_e32 v6, v79                                      // 00000000B6CC: 7E0C034F
	s_mov_b64 s[60:61], 0                                      // 00000000B6D0: BEBC0180
	v_readlane_b32 s82, v3, 26                                 // 00000000B6D4: D2890052 00013503
	s_and_b32 s82, s82, 0xffffff                               // 00000000B6DC: 8652FF52 00FFFFFF
	s_cmp_lt_u32 s82, s66                                      // 00000000B6E4: BF0A4252
	s_cselect_b32 s20, s36, s60                                // 00000000B6E8: 85143C24
	v_readlane_b32 s82, v3, 27                                 // 00000000B6EC: D2890052 00013703
	s_and_b32 s82, s82, 0xffffff                               // 00000000B6F4: 8652FF52 00FFFFFF
	s_cmp_lt_u32 s82, s66                                      // 00000000B6FC: BF0A4252
	s_cselect_b32 s21, s36, s60                                // 00000000B700: 85153C24
	s_mov_b64 exec, s[20:21]                                   // 00000000B704: BEFE0114
	global_atomic_add_f32 v6, v211, s[8:9] offset:8            // 00000000B708: DD348008 0008D306
	global_atomic_add_f32 v6, v215, s[8:9] offset:264          // 00000000B710: DD348108 0008D706
	s_mov_b64 exec, s[36:37]                                   // 00000000B718: BEFE0124
	v_mov_b32_e32 v6, v80                                      // 00000000B71C: 7E0C0350
	s_mov_b64 s[60:61], 0                                      // 00000000B720: BEBC0180
	v_readlane_b32 s82, v3, 28                                 // 00000000B724: D2890052 00013903
	s_and_b32 s82, s82, 0xffffff                               // 00000000B72C: 8652FF52 00FFFFFF
	s_cmp_lt_u32 s82, s66                                      // 00000000B734: BF0A4252
	s_cselect_b32 s20, s36, s60                                // 00000000B738: 85143C24
	v_readlane_b32 s82, v3, 29                                 // 00000000B73C: D2890052 00013B03
	s_and_b32 s82, s82, 0xffffff                               // 00000000B744: 8652FF52 00FFFFFF
	s_cmp_lt_u32 s82, s66                                      // 00000000B74C: BF0A4252
	s_cselect_b32 s21, s36, s60                                // 00000000B750: 85153C24
	s_mov_b64 exec, s[20:21]                                   // 00000000B754: BEFE0114
	global_atomic_add_f32 v6, v218, s[8:9] offset:8            // 00000000B758: DD348008 0008DA06
	global_atomic_add_f32 v6, v222, s[8:9] offset:264          // 00000000B760: DD348108 0008DE06
	s_mov_b64 exec, s[36:37]                                   // 00000000B768: BEFE0124
	v_mov_b32_e32 v6, v81                                      // 00000000B76C: 7E0C0351
	s_mov_b64 s[60:61], 0                                      // 00000000B770: BEBC0180
	v_readlane_b32 s82, v3, 30                                 // 00000000B774: D2890052 00013D03
	s_and_b32 s82, s82, 0xffffff                               // 00000000B77C: 8652FF52 00FFFFFF
	s_cmp_lt_u32 s82, s66                                      // 00000000B784: BF0A4252
	s_cselect_b32 s20, s36, s60                                // 00000000B788: 85143C24
	v_readlane_b32 s82, v3, 31                                 // 00000000B78C: D2890052 00013F03
	s_and_b32 s82, s82, 0xffffff                               // 00000000B794: 8652FF52 00FFFFFF
	s_cmp_lt_u32 s82, s66                                      // 00000000B79C: BF0A4252
	s_cselect_b32 s21, s36, s60                                // 00000000B7A0: 85153C24
	s_mov_b64 exec, s[20:21]                                   // 00000000B7A4: BEFE0114
	global_atomic_add_f32 v6, v219, s[8:9] offset:8            // 00000000B7A8: DD348008 0008DB06
	global_atomic_add_f32 v6, v223, s[8:9] offset:264          // 00000000B7B0: DD348108 0008DF06
	s_mov_b64 exec, s[36:37]                                   // 00000000B7B8: BEFE0124
	v_mov_b32_e32 v6, v82                                      // 00000000B7BC: 7E0C0352
	s_mov_b64 s[60:61], 0                                      // 00000000B7C0: BEBC0180
	v_readlane_b32 s82, v3, 32                                 // 00000000B7C4: D2890052 00014103
	s_and_b32 s82, s82, 0xffffff                               // 00000000B7CC: 8652FF52 00FFFFFF
	s_cmp_lt_u32 s82, s66                                      // 00000000B7D4: BF0A4252
	s_cselect_b32 s20, s36, s60                                // 00000000B7D8: 85143C24
	v_readlane_b32 s82, v3, 33                                 // 00000000B7DC: D2890052 00014303
	s_and_b32 s82, s82, 0xffffff                               // 00000000B7E4: 8652FF52 00FFFFFF
	s_cmp_lt_u32 s82, s66                                      // 00000000B7EC: BF0A4252
	s_cselect_b32 s21, s36, s60                                // 00000000B7F0: 85153C24
	s_mov_b64 exec, s[20:21]                                   // 00000000B7F4: BEFE0114
	global_atomic_add_f32 v6, v226, s[8:9] offset:8            // 00000000B7F8: DD348008 0008E206
	global_atomic_add_f32 v6, v230, s[8:9] offset:264          // 00000000B800: DD348108 0008E606
	s_mov_b64 exec, s[36:37]                                   // 00000000B808: BEFE0124
	v_mov_b32_e32 v6, v83                                      // 00000000B80C: 7E0C0353
	s_mov_b64 s[60:61], 0                                      // 00000000B810: BEBC0180
	v_readlane_b32 s82, v3, 34                                 // 00000000B814: D2890052 00014503
	s_and_b32 s82, s82, 0xffffff                               // 00000000B81C: 8652FF52 00FFFFFF
	s_cmp_lt_u32 s82, s66                                      // 00000000B824: BF0A4252
	s_cselect_b32 s20, s36, s60                                // 00000000B828: 85143C24
	v_readlane_b32 s82, v3, 35                                 // 00000000B82C: D2890052 00014703
	s_and_b32 s82, s82, 0xffffff                               // 00000000B834: 8652FF52 00FFFFFF
	s_cmp_lt_u32 s82, s66                                      // 00000000B83C: BF0A4252
	s_cselect_b32 s21, s36, s60                                // 00000000B840: 85153C24
	s_mov_b64 exec, s[20:21]                                   // 00000000B844: BEFE0114
	global_atomic_add_f32 v6, v227, s[8:9] offset:8            // 00000000B848: DD348008 0008E306
	global_atomic_add_f32 v6, v231, s[8:9] offset:264          // 00000000B850: DD348108 0008E706
	s_mov_b64 exec, s[36:37]                                   // 00000000B858: BEFE0124
	s_branch label_432A                                        // 00000000B85C: BF821F8F

000000000000b860 <label_239B>:
	s_waitcnt vmcnt(22) lgkmcnt(0)                             // 00000000B860: BF8C4076
	v_mfma_f32_16x16x32_fp8_fp8 v[88:91], a[144:145], a[0:1], v[88:91]// 00000000B864: D3F30058 1D620190
	buffer_load_dwordx4 a[176:179], v84, s[24:27], 0 offen     // 00000000B86C: E05C1000 8086B054
	v_mfma_f32_16x16x32_fp8_fp8 v[88:91], a[146:147], a[2:3], v[88:91]// 00000000B874: D3F30058 1D620592
	v_mfma_f32_16x16x32_fp8_fp8 v[88:91], a[148:149], a[4:5], v[88:91]// 00000000B87C: D3F30058 1D620994
	v_mfma_f32_16x16x32_fp8_fp8 v[88:91], a[150:151], a[6:7], v[88:91]// 00000000B884: D3F30058 1D620D96
	v_mfma_f32_16x16x32_fp8_fp8 v[124:127], a[152:153], a[0:1], v[124:127]// 00000000B88C: D3F3007C 1DF20198
	buffer_load_dwordx4 a[180:183], v84, s[24:27], 0 offen offset:1024// 00000000B894: E05C1400 8086B454
	v_mfma_f32_16x16x32_fp8_fp8 v[124:127], a[154:155], a[2:3], v[124:127]// 00000000B89C: D3F3007C 1DF2059A
	v_mfma_f32_16x16x32_fp8_fp8 v[124:127], a[156:157], a[4:5], v[124:127]// 00000000B8A4: D3F3007C 1DF2099C
	v_mfma_f32_16x16x32_fp8_fp8 v[124:127], a[158:159], a[6:7], v[124:127]// 00000000B8AC: D3F3007C 1DF20D9E
	v_mfma_f32_16x16x32_fp8_fp8 v[92:95], a[144:145], a[8:9], v[92:95]// 00000000B8B4: D3F3005C 1D721190
	buffer_load_dwordx4 a[184:187], v85, s[24:27], 0 offen     // 00000000B8BC: E05C1000 8086B855
	v_mfma_f32_16x16x32_fp8_fp8 v[92:95], a[146:147], a[10:11], v[92:95]// 00000000B8C4: D3F3005C 1D721592
	v_mfma_f32_16x16x32_fp8_fp8 v[92:95], a[148:149], a[12:13], v[92:95]// 00000000B8CC: D3F3005C 1D721994
	v_mfma_f32_16x16x32_fp8_fp8 v[92:95], a[150:151], a[14:15], v[92:95]// 00000000B8D4: D3F3005C 1D721D96
	v_mfma_f32_16x16x32_fp8_fp8 v[128:131], a[152:153], a[8:9], v[128:131]// 00000000B8DC: D3F30080 1E021198
	buffer_load_dwordx4 a[188:191], v85, s[24:27], 0 offen offset:1024// 00000000B8E4: E05C1400 8086BC55
	buffer_load_dword v66, s[20:23], 0 offen lds               // 00000000B8EC: E0511000 80050042
	s_add_u32 m0, 0x100, s50                                   // 00000000B8F4: 807C32FF 00000100
	v_mfma_f32_16x16x32_fp8_fp8 v[128:131], a[154:155], a[10:11], v[128:131]// 00000000B8FC: D3F30080 1E02159A
	v_mfma_f32_16x16x32_fp8_fp8 v[128:131], a[156:157], a[12:13], v[128:131]// 00000000B904: D3F30080 1E02199C
	buffer_load_dword v67, s[20:23], 0 offen lds               // 00000000B90C: E0511000 80050043
	s_add_u32 m0, 0x200, s50                                   // 00000000B914: 807C32FF 00000200
	v_mfma_f32_16x16x32_fp8_fp8 v[128:131], a[158:159], a[14:15], v[128:131]// 00000000B91C: D3F30080 1E021D9E
	v_mfma_f32_16x16x32_fp8_fp8 v[96:99], a[144:145], a[16:17], v[96:99]// 00000000B924: D3F30060 1D822190
	buffer_load_dword v68, s[20:23], 0 offen lds               // 00000000B92C: E0511000 80050044
	s_add_u32 m0, 0x300, s50                                   // 00000000B934: 807C32FF 00000300
	v_mfma_f32_16x16x32_fp8_fp8 v[96:99], a[146:147], a[18:19], v[96:99]// 00000000B93C: D3F30060 1D822592
	v_mfma_f32_16x16x32_fp8_fp8 v[96:99], a[148:149], a[20:21], v[96:99]// 00000000B944: D3F30060 1D822994
	buffer_load_dword v69, s[20:23], 0 offen lds               // 00000000B94C: E0511000 80050045
	s_add_u32 m0, 0x400, s50                                   // 00000000B954: 807C32FF 00000400
	v_mfma_f32_16x16x32_fp8_fp8 v[96:99], a[150:151], a[22:23], v[96:99]// 00000000B95C: D3F30060 1D822D96
	v_mfma_f32_16x16x32_fp8_fp8 v[132:135], a[152:153], a[16:17], v[132:135]// 00000000B964: D3F30084 1E122198
	buffer_load_dword v70, s[20:23], 0 offen lds               // 00000000B96C: E0511000 80050046
	s_add_u32 m0, 0x500, s50                                   // 00000000B974: 807C32FF 00000500
	v_mfma_f32_16x16x32_fp8_fp8 v[132:135], a[154:155], a[18:19], v[132:135]// 00000000B97C: D3F30084 1E12259A
	v_mfma_f32_16x16x32_fp8_fp8 v[132:135], a[156:157], a[20:21], v[132:135]// 00000000B984: D3F30084 1E12299C
	buffer_load_dword v71, s[20:23], 0 offen lds               // 00000000B98C: E0511000 80050047
	s_add_u32 m0, 0x600, s50                                   // 00000000B994: 807C32FF 00000600
	v_mfma_f32_16x16x32_fp8_fp8 v[132:135], a[158:159], a[22:23], v[132:135]// 00000000B99C: D3F30084 1E122D9E
	v_mfma_f32_16x16x32_fp8_fp8 v[100:103], a[144:145], a[24:25], v[100:103]// 00000000B9A4: D3F30064 1D923190
	buffer_load_dword v72, s[20:23], 0 offen lds               // 00000000B9AC: E0511000 80050048
	s_add_u32 m0, 0x700, s50                                   // 00000000B9B4: 807C32FF 00000700
	v_mfma_f32_16x16x32_fp8_fp8 v[100:103], a[146:147], a[26:27], v[100:103]// 00000000B9BC: D3F30064 1D923592
	v_mfma_f32_16x16x32_fp8_fp8 v[100:103], a[148:149], a[28:29], v[100:103]// 00000000B9C4: D3F30064 1D923994
	buffer_load_dword v73, s[20:23], 0 offen lds               // 00000000B9CC: E0511000 80050049
	s_add_u32 m0, 0x800, s50                                   // 00000000B9D4: 807C32FF 00000800
	v_mfma_f32_16x16x32_fp8_fp8 v[100:103], a[150:151], a[30:31], v[100:103]// 00000000B9DC: D3F30064 1D923D96
	v_mfma_f32_16x16x32_fp8_fp8 v[136:139], a[152:153], a[24:25], v[136:139]// 00000000B9E4: D3F30088 1E223198
	buffer_load_dword v74, s[20:23], 0 offen lds               // 00000000B9EC: E0511000 8005004A
	s_add_u32 m0, 0x900, s50                                   // 00000000B9F4: 807C32FF 00000900
	v_mfma_f32_16x16x32_fp8_fp8 v[136:139], a[154:155], a[26:27], v[136:139]// 00000000B9FC: D3F30088 1E22359A
	v_mfma_f32_16x16x32_fp8_fp8 v[136:139], a[156:157], a[28:29], v[136:139]// 00000000BA04: D3F30088 1E22399C
	buffer_load_dword v75, s[20:23], 0 offen lds               // 00000000BA0C: E0511000 8005004B
	s_add_u32 m0, 0xa00, s50                                   // 00000000BA14: 807C32FF 00000A00
	v_mfma_f32_16x16x32_fp8_fp8 v[136:139], a[158:159], a[30:31], v[136:139]// 00000000BA1C: D3F30088 1E223D9E
	v_mfma_f32_16x16x32_fp8_fp8 v[104:107], a[144:145], a[32:33], v[104:107]// 00000000BA24: D3F30068 1DA24190
	buffer_load_dword v76, s[20:23], 0 offen lds               // 00000000BA2C: E0511000 8005004C
	s_add_u32 m0, 0xb00, s50                                   // 00000000BA34: 807C32FF 00000B00
	v_mfma_f32_16x16x32_fp8_fp8 v[104:107], a[146:147], a[34:35], v[104:107]// 00000000BA3C: D3F30068 1DA24592
	v_mfma_f32_16x16x32_fp8_fp8 v[104:107], a[148:149], a[36:37], v[104:107]// 00000000BA44: D3F30068 1DA24994
	buffer_load_dword v77, s[20:23], 0 offen lds               // 00000000BA4C: E0511000 8005004D
	s_add_u32 m0, 0xc00, s50                                   // 00000000BA54: 807C32FF 00000C00
	v_mfma_f32_16x16x32_fp8_fp8 v[104:107], a[150:151], a[38:39], v[104:107]// 00000000BA5C: D3F30068 1DA24D96
	v_mfma_f32_16x16x32_fp8_fp8 v[140:143], a[152:153], a[32:33], v[140:143]// 00000000BA64: D3F3008C 1E324198
	buffer_load_dword v78, s[20:23], 0 offen lds               // 00000000BA6C: E0511000 8005004E
	s_add_u32 m0, 0xd00, s50                                   // 00000000BA74: 807C32FF 00000D00
	v_mfma_f32_16x16x32_fp8_fp8 v[140:143], a[154:155], a[34:35], v[140:143]// 00000000BA7C: D3F3008C 1E32459A
	v_mfma_f32_16x16x32_fp8_fp8 v[140:143], a[156:157], a[36:37], v[140:143]// 00000000BA84: D3F3008C 1E32499C
	buffer_load_dword v79, s[20:23], 0 offen lds               // 00000000BA8C: E0511000 8005004F
	s_add_u32 m0, 0xe00, s50                                   // 00000000BA94: 807C32FF 00000E00
	v_mfma_f32_16x16x32_fp8_fp8 v[140:143], a[158:159], a[38:39], v[140:143]// 00000000BA9C: D3F3008C 1E324D9E
	v_mfma_f32_16x16x32_fp8_fp8 v[108:111], a[144:145], a[40:41], v[108:111]// 00000000BAA4: D3F3006C 1DB25190
	buffer_load_dword v80, s[20:23], 0 offen lds               // 00000000BAAC: E0511000 80050050
	s_add_u32 m0, 0xf00, s50                                   // 00000000BAB4: 807C32FF 00000F00
	v_mfma_f32_16x16x32_fp8_fp8 v[108:111], a[146:147], a[42:43], v[108:111]// 00000000BABC: D3F3006C 1DB25592
	v_mfma_f32_16x16x32_fp8_fp8 v[108:111], a[148:149], a[44:45], v[108:111]// 00000000BAC4: D3F3006C 1DB25994
	buffer_load_dword v81, s[20:23], 0 offen lds               // 00000000BACC: E0511000 80050051
	s_add_u32 m0, 0x1000, s50                                  // 00000000BAD4: 807C32FF 00001000
	v_mfma_f32_16x16x32_fp8_fp8 v[108:111], a[150:151], a[46:47], v[108:111]// 00000000BADC: D3F3006C 1DB25D96
	v_mfma_f32_16x16x32_fp8_fp8 v[144:147], a[152:153], a[40:41], v[144:147]// 00000000BAE4: D3F30090 1E425198
	buffer_load_dword v82, s[20:23], 0 offen lds               // 00000000BAEC: E0511000 80050052
	s_add_u32 m0, 0x1100, s50                                  // 00000000BAF4: 807C32FF 00001100
	v_mfma_f32_16x16x32_fp8_fp8 v[144:147], a[154:155], a[42:43], v[144:147]// 00000000BAFC: D3F30090 1E42559A
	v_mfma_f32_16x16x32_fp8_fp8 v[144:147], a[156:157], a[44:45], v[144:147]// 00000000BB04: D3F30090 1E42599C
	buffer_load_dword v83, s[20:23], 0 offen lds               // 00000000BB0C: E0511000 80050053
	s_add_u32 m0, 0, s48                                       // 00000000BB14: 807C3080
	v_mfma_f32_16x16x32_fp8_fp8 v[144:147], a[158:159], a[46:47], v[144:147]// 00000000BB18: D3F30090 1E425D9E
	v_mfma_f32_16x16x32_fp8_fp8 v[112:115], a[144:145], a[48:49], v[112:115]// 00000000BB20: D3F30070 1DC26190
	v_mfma_f32_16x16x32_fp8_fp8 v[112:115], a[146:147], a[50:51], v[112:115]// 00000000BB28: D3F30070 1DC26592
	v_mfma_f32_16x16x32_fp8_fp8 v[112:115], a[148:149], a[52:53], v[112:115]// 00000000BB30: D3F30070 1DC26994
	v_mfma_f32_16x16x32_fp8_fp8 v[112:115], a[150:151], a[54:55], v[112:115]// 00000000BB38: D3F30070 1DC26D96
	v_mfma_f32_16x16x32_fp8_fp8 v[148:151], a[152:153], a[48:49], v[148:151]// 00000000BB40: D3F30094 1E526198
	v_mfma_f32_16x16x32_fp8_fp8 v[148:151], a[154:155], a[50:51], v[148:151]// 00000000BB48: D3F30094 1E52659A
	v_mfma_f32_16x16x32_fp8_fp8 v[148:151], a[156:157], a[52:53], v[148:151]// 00000000BB50: D3F30094 1E52699C
	v_mfma_f32_16x16x32_fp8_fp8 v[148:151], a[158:159], a[54:55], v[148:151]// 00000000BB58: D3F30094 1E526D9E
	v_mfma_f32_16x16x32_fp8_fp8 v[116:119], a[144:145], a[56:57], v[116:119]// 00000000BB60: D3F30074 1DD27190
	v_mfma_f32_16x16x32_fp8_fp8 v[116:119], a[146:147], a[58:59], v[116:119]// 00000000BB68: D3F30074 1DD27592
	v_mfma_f32_16x16x32_fp8_fp8 v[116:119], a[148:149], a[60:61], v[116:119]// 00000000BB70: D3F30074 1DD27994
	v_mfma_f32_16x16x32_fp8_fp8 v[116:119], a[150:151], a[62:63], v[116:119]// 00000000BB78: D3F30074 1DD27D96
	v_mfma_f32_16x16x32_fp8_fp8 v[152:155], a[152:153], a[56:57], v[152:155]// 00000000BB80: D3F30098 1E627198
	v_mfma_f32_16x16x32_fp8_fp8 v[152:155], a[154:155], a[58:59], v[152:155]// 00000000BB88: D3F30098 1E62759A
	v_mfma_f32_16x16x32_fp8_fp8 v[152:155], a[156:157], a[60:61], v[152:155]// 00000000BB90: D3F30098 1E62799C
	v_mfma_f32_16x16x32_fp8_fp8 v[152:155], a[158:159], a[62:63], v[152:155]// 00000000BB98: D3F30098 1E627D9E
	v_mfma_f32_16x16x32_fp8_fp8 v[120:123], a[144:145], a[64:65], v[120:123]// 00000000BBA0: D3F30078 1DE28190
	v_mfma_f32_16x16x32_fp8_fp8 v[120:123], a[146:147], a[66:67], v[120:123]// 00000000BBA8: D3F30078 1DE28592
	v_mfma_f32_16x16x32_fp8_fp8 v[120:123], a[148:149], a[68:69], v[120:123]// 00000000BBB0: D3F30078 1DE28994
	v_mfma_f32_16x16x32_fp8_fp8 v[120:123], a[150:151], a[70:71], v[120:123]// 00000000BBB8: D3F30078 1DE28D96
	v_mfma_f32_16x16x32_fp8_fp8 v[156:159], a[152:153], a[64:65], v[156:159]// 00000000BBC0: D3F3009C 1E728198
	v_mfma_f32_16x16x32_fp8_fp8 v[156:159], a[154:155], a[66:67], v[156:159]// 00000000BBC8: D3F3009C 1E72859A
	v_mfma_f32_16x16x32_fp8_fp8 v[156:159], a[156:157], a[68:69], v[156:159]// 00000000BBD0: D3F3009C 1E72899C
	v_mfma_f32_16x16x32_fp8_fp8 v[156:159], a[158:159], a[70:71], v[156:159]// 00000000BBD8: D3F3009C 1E728D9E
	s_waitcnt vmcnt(22)                                        // 00000000BBE0: BF8C4F76
	s_barrier                                                  // 00000000BBE4: BF8A0000
	v_mfma_f32_16x16x32_fp8_fp8 v[160:163], a[160:161], a[0:1], v[160:163]// 00000000BBE8: D3F300A0 1E8201A0
	buffer_load_dwordx4 a[144:147], v84, s[84:87], 0 offen     // 00000000BBF0: E05C1000 80959054
	v_mfma_f32_16x16x32_fp8_fp8 v[160:163], a[162:163], a[2:3], v[160:163]// 00000000BBF8: D3F300A0 1E8205A2
	v_mfma_f32_16x16x32_fp8_fp8 v[160:163], a[164:165], a[4:5], v[160:163]// 00000000BC00: D3F300A0 1E8209A4
	ds_read_b128 a[72:75], v2 offset:18560                     // 00000000BC08: DBFE4880 48000002
	ds_read_b128 a[76:79], v2 offset:18624                     // 00000000BC10: DBFE48C0 4C000002
	v_mfma_f32_16x16x32_fp8_fp8 v[160:163], a[166:167], a[6:7], v[160:163]// 00000000BC18: D3F300A0 1E820DA6
	v_mfma_f32_16x16x32_fp8_fp8 v[196:199], a[168:169], a[0:1], v[196:199]// 00000000BC20: D3F300C4 1F1201A8
	buffer_load_dwordx4 a[148:151], v84, s[84:87], 0 offen offset:1024// 00000000BC28: E05C1400 80959454
	v_mfma_f32_16x16x32_fp8_fp8 v[196:199], a[170:171], a[2:3], v[196:199]// 00000000BC30: D3F300C4 1F1205AA
	v_mfma_f32_16x16x32_fp8_fp8 v[196:199], a[172:173], a[4:5], v[196:199]// 00000000BC38: D3F300C4 1F1209AC
	ds_read_b128 a[80:83], v2 offset:19072                     // 00000000BC40: DBFE4A80 50000002
	ds_read_b128 a[84:87], v2 offset:19136                     // 00000000BC48: DBFE4AC0 54000002
	v_mfma_f32_16x16x32_fp8_fp8 v[196:199], a[174:175], a[6:7], v[196:199]// 00000000BC50: D3F300C4 1F120DAE
	v_mfma_f32_16x16x32_fp8_fp8 v[164:167], a[160:161], a[8:9], v[164:167]// 00000000BC58: D3F300A4 1E9211A0
	buffer_load_dwordx4 a[152:155], v85, s[84:87], 0 offen     // 00000000BC60: E05C1000 80959855
	v_mfma_f32_16x16x32_fp8_fp8 v[164:167], a[162:163], a[10:11], v[164:167]// 00000000BC68: D3F300A4 1E9215A2
	v_mfma_f32_16x16x32_fp8_fp8 v[164:167], a[164:165], a[12:13], v[164:167]// 00000000BC70: D3F300A4 1E9219A4
	ds_read_b128 a[88:91], v2 offset:19584                     // 00000000BC78: DBFE4C80 58000002
	ds_read_b128 a[92:95], v2 offset:19648                     // 00000000BC80: DBFE4CC0 5C000002
	v_mfma_f32_16x16x32_fp8_fp8 v[164:167], a[166:167], a[14:15], v[164:167]// 00000000BC88: D3F300A4 1E921DA6
	v_mfma_f32_16x16x32_fp8_fp8 v[200:203], a[168:169], a[8:9], v[200:203]// 00000000BC90: D3F300C8 1F2211A8
	buffer_load_dwordx4 a[156:159], v85, s[84:87], 0 offen offset:1024// 00000000BC98: E05C1400 80959C55
	v_mfma_f32_16x16x32_fp8_fp8 v[200:203], a[170:171], a[10:11], v[200:203]// 00000000BCA0: D3F300C8 1F2215AA
	v_mfma_f32_16x16x32_fp8_fp8 v[200:203], a[172:173], a[12:13], v[200:203]// 00000000BCA8: D3F300C8 1F2219AC
	ds_read_b128 a[96:99], v2 offset:20096                     // 00000000BCB0: DBFE4E80 60000002
	ds_read_b128 a[100:103], v2 offset:20160                   // 00000000BCB8: DBFE4EC0 64000002
	v_mfma_f32_16x16x32_fp8_fp8 v[200:203], a[174:175], a[14:15], v[200:203]// 00000000BCC0: D3F300C8 1F221DAE
	v_mfma_f32_16x16x32_fp8_fp8 v[168:171], a[160:161], a[16:17], v[168:171]// 00000000BCC8: D3F300A8 1EA221A0
	v_mfma_f32_16x16x32_fp8_fp8 v[168:171], a[162:163], a[18:19], v[168:171]// 00000000BCD0: D3F300A8 1EA225A2
	v_mfma_f32_16x16x32_fp8_fp8 v[168:171], a[164:165], a[20:21], v[168:171]// 00000000BCD8: D3F300A8 1EA229A4
	ds_read_b128 a[104:107], v2 offset:20608                   // 00000000BCE0: DBFE5080 68000002
	ds_read_b128 a[108:111], v2 offset:20672                   // 00000000BCE8: DBFE50C0 6C000002
	v_mfma_f32_16x16x32_fp8_fp8 v[168:171], a[166:167], a[22:23], v[168:171]// 00000000BCF0: D3F300A8 1EA22DA6
	v_mfma_f32_16x16x32_fp8_fp8 v[204:207], a[168:169], a[16:17], v[204:207]// 00000000BCF8: D3F300CC 1F3221A8
	v_mfma_f32_16x16x32_fp8_fp8 v[204:207], a[170:171], a[18:19], v[204:207]// 00000000BD00: D3F300CC 1F3225AA
	v_mfma_f32_16x16x32_fp8_fp8 v[204:207], a[172:173], a[20:21], v[204:207]// 00000000BD08: D3F300CC 1F3229AC
	ds_read_b128 a[112:115], v2 offset:21120                   // 00000000BD10: DBFE5280 70000002
	ds_read_b128 a[116:119], v2 offset:21184                   // 00000000BD18: DBFE52C0 74000002
	v_mfma_f32_16x16x32_fp8_fp8 v[204:207], a[174:175], a[22:23], v[204:207]// 00000000BD20: D3F300CC 1F322DAE
	v_mfma_f32_16x16x32_fp8_fp8 v[172:175], a[160:161], a[24:25], v[172:175]// 00000000BD28: D3F300AC 1EB231A0
	v_mfma_f32_16x16x32_fp8_fp8 v[172:175], a[162:163], a[26:27], v[172:175]// 00000000BD30: D3F300AC 1EB235A2
	v_mfma_f32_16x16x32_fp8_fp8 v[172:175], a[164:165], a[28:29], v[172:175]// 00000000BD38: D3F300AC 1EB239A4
	ds_read_b128 a[120:123], v2 offset:21632                   // 00000000BD40: DBFE5480 78000002
	ds_read_b128 a[124:127], v2 offset:21696                   // 00000000BD48: DBFE54C0 7C000002
	v_mfma_f32_16x16x32_fp8_fp8 v[172:175], a[166:167], a[30:31], v[172:175]// 00000000BD50: D3F300AC 1EB23DA6
	v_mfma_f32_16x16x32_fp8_fp8 v[208:211], a[168:169], a[24:25], v[208:211]// 00000000BD58: D3F300D0 1F4231A8
	v_mfma_f32_16x16x32_fp8_fp8 v[208:211], a[170:171], a[26:27], v[208:211]// 00000000BD60: D3F300D0 1F4235AA
	v_mfma_f32_16x16x32_fp8_fp8 v[208:211], a[172:173], a[28:29], v[208:211]// 00000000BD68: D3F300D0 1F4239AC
	ds_read_b128 a[128:131], v2 offset:22144                   // 00000000BD70: DBFE5680 80000002
	ds_read_b128 a[132:135], v2 offset:22208                   // 00000000BD78: DBFE56C0 84000002
	v_mfma_f32_16x16x32_fp8_fp8 v[208:211], a[174:175], a[30:31], v[208:211]// 00000000BD80: D3F300D0 1F423DAE
	v_mfma_f32_16x16x32_fp8_fp8 v[176:179], a[160:161], a[32:33], v[176:179]// 00000000BD88: D3F300B0 1EC241A0
	v_mfma_f32_16x16x32_fp8_fp8 v[176:179], a[162:163], a[34:35], v[176:179]// 00000000BD90: D3F300B0 1EC245A2
	v_mfma_f32_16x16x32_fp8_fp8 v[176:179], a[164:165], a[36:37], v[176:179]// 00000000BD98: D3F300B0 1EC249A4
	ds_read_b128 a[136:139], v2 offset:22656                   // 00000000BDA0: DBFE5880 88000002
	ds_read_b128 a[140:143], v2 offset:22720                   // 00000000BDA8: DBFE58C0 8C000002
	v_mfma_f32_16x16x32_fp8_fp8 v[176:179], a[166:167], a[38:39], v[176:179]// 00000000BDB0: D3F300B0 1EC24DA6
	v_mfma_f32_16x16x32_fp8_fp8 v[212:215], a[168:169], a[32:33], v[212:215]// 00000000BDB8: D3F300D4 1F5241A8
	v_mfma_f32_16x16x32_fp8_fp8 v[212:215], a[170:171], a[34:35], v[212:215]// 00000000BDC0: D3F300D4 1F5245AA
	v_mfma_f32_16x16x32_fp8_fp8 v[212:215], a[172:173], a[36:37], v[212:215]// 00000000BDC8: D3F300D4 1F5249AC
	v_mfma_f32_16x16x32_fp8_fp8 v[212:215], a[174:175], a[38:39], v[212:215]// 00000000BDD0: D3F300D4 1F524DAE
	v_mfma_f32_16x16x32_fp8_fp8 v[180:183], a[160:161], a[40:41], v[180:183]// 00000000BDD8: D3F300B4 1ED251A0
	v_mfma_f32_16x16x32_fp8_fp8 v[180:183], a[162:163], a[42:43], v[180:183]// 00000000BDE0: D3F300B4 1ED255A2
	v_mfma_f32_16x16x32_fp8_fp8 v[180:183], a[164:165], a[44:45], v[180:183]// 00000000BDE8: D3F300B4 1ED259A4
	v_mfma_f32_16x16x32_fp8_fp8 v[180:183], a[166:167], a[46:47], v[180:183]// 00000000BDF0: D3F300B4 1ED25DA6
	v_mfma_f32_16x16x32_fp8_fp8 v[216:219], a[168:169], a[40:41], v[216:219]// 00000000BDF8: D3F300D8 1F6251A8
	v_mfma_f32_16x16x32_fp8_fp8 v[216:219], a[170:171], a[42:43], v[216:219]// 00000000BE00: D3F300D8 1F6255AA
	v_mfma_f32_16x16x32_fp8_fp8 v[216:219], a[172:173], a[44:45], v[216:219]// 00000000BE08: D3F300D8 1F6259AC
	v_mfma_f32_16x16x32_fp8_fp8 v[216:219], a[174:175], a[46:47], v[216:219]// 00000000BE10: D3F300D8 1F625DAE
	v_mfma_f32_16x16x32_fp8_fp8 v[184:187], a[160:161], a[48:49], v[184:187]// 00000000BE18: D3F300B8 1EE261A0
	v_mfma_f32_16x16x32_fp8_fp8 v[184:187], a[162:163], a[50:51], v[184:187]// 00000000BE20: D3F300B8 1EE265A2
	v_mfma_f32_16x16x32_fp8_fp8 v[184:187], a[164:165], a[52:53], v[184:187]// 00000000BE28: D3F300B8 1EE269A4
	v_mfma_f32_16x16x32_fp8_fp8 v[184:187], a[166:167], a[54:55], v[184:187]// 00000000BE30: D3F300B8 1EE26DA6
	v_mfma_f32_16x16x32_fp8_fp8 v[220:223], a[168:169], a[48:49], v[220:223]// 00000000BE38: D3F300DC 1F7261A8
	v_mfma_f32_16x16x32_fp8_fp8 v[220:223], a[170:171], a[50:51], v[220:223]// 00000000BE40: D3F300DC 1F7265AA
	v_mfma_f32_16x16x32_fp8_fp8 v[220:223], a[172:173], a[52:53], v[220:223]// 00000000BE48: D3F300DC 1F7269AC
	v_mfma_f32_16x16x32_fp8_fp8 v[220:223], a[174:175], a[54:55], v[220:223]// 00000000BE50: D3F300DC 1F726DAE
	v_mfma_f32_16x16x32_fp8_fp8 v[188:191], a[160:161], a[56:57], v[188:191]// 00000000BE58: D3F300BC 1EF271A0
	v_mfma_f32_16x16x32_fp8_fp8 v[188:191], a[162:163], a[58:59], v[188:191]// 00000000BE60: D3F300BC 1EF275A2
	v_mfma_f32_16x16x32_fp8_fp8 v[188:191], a[164:165], a[60:61], v[188:191]// 00000000BE68: D3F300BC 1EF279A4
	v_mfma_f32_16x16x32_fp8_fp8 v[188:191], a[166:167], a[62:63], v[188:191]// 00000000BE70: D3F300BC 1EF27DA6
	v_mfma_f32_16x16x32_fp8_fp8 v[224:227], a[168:169], a[56:57], v[224:227]// 00000000BE78: D3F300E0 1F8271A8
	v_mfma_f32_16x16x32_fp8_fp8 v[224:227], a[170:171], a[58:59], v[224:227]// 00000000BE80: D3F300E0 1F8275AA
	v_mfma_f32_16x16x32_fp8_fp8 v[224:227], a[172:173], a[60:61], v[224:227]// 00000000BE88: D3F300E0 1F8279AC
	v_mfma_f32_16x16x32_fp8_fp8 v[224:227], a[174:175], a[62:63], v[224:227]// 00000000BE90: D3F300E0 1F827DAE
	v_mfma_f32_16x16x32_fp8_fp8 v[192:195], a[160:161], a[64:65], v[192:195]// 00000000BE98: D3F300C0 1F0281A0
	s_add_u32 s60, 0x180, s80                                  // 00000000BEA0: 803C50FF 00000180
	s_cmp_lt_u32 s60, s81                                      // 00000000BEA8: BF0A513C
	s_cselect_b32 s57, s57, 0                                  // 00000000BEAC: 85398039
	v_mfma_f32_16x16x32_fp8_fp8 v[192:195], a[162:163], a[66:67], v[192:195]// 00000000BEB0: D3F300C0 1F0285A2
	s_add_u32 s60, 0x100, s80                                  // 00000000BEB8: 803C50FF 00000100
	s_cmp_lt_u32 s60, s81                                      // 00000000BEC0: BF0A513C
	s_cselect_b32 s58, s58, 0                                  // 00000000BEC4: 853A803A
	v_mfma_f32_16x16x32_fp8_fp8 v[192:195], a[164:165], a[68:69], v[192:195]// 00000000BEC8: D3F300C0 1F0289A4
	s_add_u32 s60, 0x100, s80                                  // 00000000BED0: 803C50FF 00000100
	s_cmp_lt_u32 s60, s81                                      // 00000000BED8: BF0A513C
	s_cselect_b32 s83, s83, 0                                  // 00000000BEDC: 85538053
	v_mfma_f32_16x16x32_fp8_fp8 v[192:195], a[166:167], a[70:71], v[192:195]// 00000000BEE0: D3F300C0 1F028DA6
	s_add_u32 s24, s58, s24                                    // 00000000BEE8: 8018183A
	s_addc_u32 s25, 0, s25                                     // 00000000BEEC: 82191980
	v_mfma_f32_16x16x32_fp8_fp8 v[228:231], a[168:169], a[64:65], v[228:231]// 00000000BEF0: D3F300E4 1F9281A8
	s_add_u32 s20, s57, s20                                    // 00000000BEF8: 80141439
	s_addc_u32 s21, 0, s21                                     // 00000000BEFC: 82151580
	v_mfma_f32_16x16x32_fp8_fp8 v[228:231], a[170:171], a[66:67], v[228:231]// 00000000BF00: D3F300E4 1F9285AA
	s_add_u32 s84, s83, s84                                    // 00000000BF08: 80545453
	s_addc_u32 s85, 0, s85                                     // 00000000BF0C: 82555580
	v_mfma_f32_16x16x32_fp8_fp8 v[228:231], a[172:173], a[68:69], v[228:231]// 00000000BF10: D3F300E4 1F9289AC
	v_mfma_f32_16x16x32_fp8_fp8 v[228:231], a[174:175], a[70:71], v[228:231]// 00000000BF18: D3F300E4 1F928DAE
	s_addk_i32 s80, 0x80                                       // 00000000BF20: B7500080
	s_cmp_lt_i32 s80, s81                                      // 00000000BF24: BF045150
	s_cbranch_scc0 label_2DCE                                  // 00000000BF28: BF840880
	s_waitcnt vmcnt(22) lgkmcnt(0)                             // 00000000BF2C: BF8C4076
	v_mfma_f32_16x16x32_fp8_fp8 v[88:91], a[176:177], a[72:73], v[88:91]// 00000000BF30: D3F30058 1D6291B0
	buffer_load_dwordx4 a[160:163], v84, s[24:27], 0 offen     // 00000000BF38: E05C1000 8086A054
	v_mfma_f32_16x16x32_fp8_fp8 v[88:91], a[178:179], a[74:75], v[88:91]// 00000000BF40: D3F30058 1D6295B2
	v_mfma_f32_16x16x32_fp8_fp8 v[88:91], a[180:181], a[76:77], v[88:91]// 00000000BF48: D3F30058 1D6299B4
	v_mfma_f32_16x16x32_fp8_fp8 v[88:91], a[182:183], a[78:79], v[88:91]// 00000000BF50: D3F30058 1D629DB6
	v_mfma_f32_16x16x32_fp8_fp8 v[124:127], a[184:185], a[72:73], v[124:127]// 00000000BF58: D3F3007C 1DF291B8
	buffer_load_dwordx4 a[164:167], v84, s[24:27], 0 offen offset:1024// 00000000BF60: E05C1400 8086A454
	v_mfma_f32_16x16x32_fp8_fp8 v[124:127], a[186:187], a[74:75], v[124:127]// 00000000BF68: D3F3007C 1DF295BA
	v_mfma_f32_16x16x32_fp8_fp8 v[124:127], a[188:189], a[76:77], v[124:127]// 00000000BF70: D3F3007C 1DF299BC
	v_mfma_f32_16x16x32_fp8_fp8 v[124:127], a[190:191], a[78:79], v[124:127]// 00000000BF78: D3F3007C 1DF29DBE
	v_mfma_f32_16x16x32_fp8_fp8 v[92:95], a[176:177], a[80:81], v[92:95]// 00000000BF80: D3F3005C 1D72A1B0
	buffer_load_dwordx4 a[168:171], v85, s[24:27], 0 offen     // 00000000BF88: E05C1000 8086A855
	v_mfma_f32_16x16x32_fp8_fp8 v[92:95], a[178:179], a[82:83], v[92:95]// 00000000BF90: D3F3005C 1D72A5B2
	v_mfma_f32_16x16x32_fp8_fp8 v[92:95], a[180:181], a[84:85], v[92:95]// 00000000BF98: D3F3005C 1D72A9B4
	v_mfma_f32_16x16x32_fp8_fp8 v[92:95], a[182:183], a[86:87], v[92:95]// 00000000BFA0: D3F3005C 1D72ADB6
	v_mfma_f32_16x16x32_fp8_fp8 v[128:131], a[184:185], a[80:81], v[128:131]// 00000000BFA8: D3F30080 1E02A1B8
	buffer_load_dwordx4 a[172:175], v85, s[24:27], 0 offen offset:1024// 00000000BFB0: E05C1400 8086AC55
	buffer_load_dword v66, s[20:23], 0 offen lds               // 00000000BFB8: E0511000 80050042
	s_add_u32 m0, 0x100, s48                                   // 00000000BFC0: 807C30FF 00000100
	v_mfma_f32_16x16x32_fp8_fp8 v[128:131], a[186:187], a[82:83], v[128:131]// 00000000BFC8: D3F30080 1E02A5BA
	v_mfma_f32_16x16x32_fp8_fp8 v[128:131], a[188:189], a[84:85], v[128:131]// 00000000BFD0: D3F30080 1E02A9BC
	buffer_load_dword v67, s[20:23], 0 offen lds               // 00000000BFD8: E0511000 80050043
	s_add_u32 m0, 0x200, s48                                   // 00000000BFE0: 807C30FF 00000200
	v_mfma_f32_16x16x32_fp8_fp8 v[128:131], a[190:191], a[86:87], v[128:131]// 00000000BFE8: D3F30080 1E02ADBE
	v_mfma_f32_16x16x32_fp8_fp8 v[96:99], a[176:177], a[88:89], v[96:99]// 00000000BFF0: D3F30060 1D82B1B0
	buffer_load_dword v68, s[20:23], 0 offen lds               // 00000000BFF8: E0511000 80050044
	s_add_u32 m0, 0x300, s48                                   // 00000000C000: 807C30FF 00000300
	v_mfma_f32_16x16x32_fp8_fp8 v[96:99], a[178:179], a[90:91], v[96:99]// 00000000C008: D3F30060 1D82B5B2
	v_mfma_f32_16x16x32_fp8_fp8 v[96:99], a[180:181], a[92:93], v[96:99]// 00000000C010: D3F30060 1D82B9B4
	buffer_load_dword v69, s[20:23], 0 offen lds               // 00000000C018: E0511000 80050045
	s_add_u32 m0, 0x400, s48                                   // 00000000C020: 807C30FF 00000400
	v_mfma_f32_16x16x32_fp8_fp8 v[96:99], a[182:183], a[94:95], v[96:99]// 00000000C028: D3F30060 1D82BDB6
	v_mfma_f32_16x16x32_fp8_fp8 v[132:135], a[184:185], a[88:89], v[132:135]// 00000000C030: D3F30084 1E12B1B8
	buffer_load_dword v70, s[20:23], 0 offen lds               // 00000000C038: E0511000 80050046
	s_add_u32 m0, 0x500, s48                                   // 00000000C040: 807C30FF 00000500
	v_mfma_f32_16x16x32_fp8_fp8 v[132:135], a[186:187], a[90:91], v[132:135]// 00000000C048: D3F30084 1E12B5BA
	v_mfma_f32_16x16x32_fp8_fp8 v[132:135], a[188:189], a[92:93], v[132:135]// 00000000C050: D3F30084 1E12B9BC
	buffer_load_dword v71, s[20:23], 0 offen lds               // 00000000C058: E0511000 80050047
	s_add_u32 m0, 0x600, s48                                   // 00000000C060: 807C30FF 00000600
	v_mfma_f32_16x16x32_fp8_fp8 v[132:135], a[190:191], a[94:95], v[132:135]// 00000000C068: D3F30084 1E12BDBE
	v_mfma_f32_16x16x32_fp8_fp8 v[100:103], a[176:177], a[96:97], v[100:103]// 00000000C070: D3F30064 1D92C1B0
	buffer_load_dword v72, s[20:23], 0 offen lds               // 00000000C078: E0511000 80050048
	s_add_u32 m0, 0x700, s48                                   // 00000000C080: 807C30FF 00000700
	v_mfma_f32_16x16x32_fp8_fp8 v[100:103], a[178:179], a[98:99], v[100:103]// 00000000C088: D3F30064 1D92C5B2
	v_mfma_f32_16x16x32_fp8_fp8 v[100:103], a[180:181], a[100:101], v[100:103]// 00000000C090: D3F30064 1D92C9B4
	buffer_load_dword v73, s[20:23], 0 offen lds               // 00000000C098: E0511000 80050049
	s_add_u32 m0, 0x800, s48                                   // 00000000C0A0: 807C30FF 00000800
	v_mfma_f32_16x16x32_fp8_fp8 v[100:103], a[182:183], a[102:103], v[100:103]// 00000000C0A8: D3F30064 1D92CDB6
	v_mfma_f32_16x16x32_fp8_fp8 v[136:139], a[184:185], a[96:97], v[136:139]// 00000000C0B0: D3F30088 1E22C1B8
	buffer_load_dword v74, s[20:23], 0 offen lds               // 00000000C0B8: E0511000 8005004A
	s_add_u32 m0, 0x900, s48                                   // 00000000C0C0: 807C30FF 00000900
	v_mfma_f32_16x16x32_fp8_fp8 v[136:139], a[186:187], a[98:99], v[136:139]// 00000000C0C8: D3F30088 1E22C5BA
	v_mfma_f32_16x16x32_fp8_fp8 v[136:139], a[188:189], a[100:101], v[136:139]// 00000000C0D0: D3F30088 1E22C9BC
	buffer_load_dword v75, s[20:23], 0 offen lds               // 00000000C0D8: E0511000 8005004B
	s_add_u32 m0, 0xa00, s48                                   // 00000000C0E0: 807C30FF 00000A00
	v_mfma_f32_16x16x32_fp8_fp8 v[136:139], a[190:191], a[102:103], v[136:139]// 00000000C0E8: D3F30088 1E22CDBE
	v_mfma_f32_16x16x32_fp8_fp8 v[104:107], a[176:177], a[104:105], v[104:107]// 00000000C0F0: D3F30068 1DA2D1B0
	buffer_load_dword v76, s[20:23], 0 offen lds               // 00000000C0F8: E0511000 8005004C
	s_add_u32 m0, 0xb00, s48                                   // 00000000C100: 807C30FF 00000B00
	v_mfma_f32_16x16x32_fp8_fp8 v[104:107], a[178:179], a[106:107], v[104:107]// 00000000C108: D3F30068 1DA2D5B2
	v_mfma_f32_16x16x32_fp8_fp8 v[104:107], a[180:181], a[108:109], v[104:107]// 00000000C110: D3F30068 1DA2D9B4
	buffer_load_dword v77, s[20:23], 0 offen lds               // 00000000C118: E0511000 8005004D
	s_add_u32 m0, 0xc00, s48                                   // 00000000C120: 807C30FF 00000C00
	v_mfma_f32_16x16x32_fp8_fp8 v[104:107], a[182:183], a[110:111], v[104:107]// 00000000C128: D3F30068 1DA2DDB6
	v_mfma_f32_16x16x32_fp8_fp8 v[140:143], a[184:185], a[104:105], v[140:143]// 00000000C130: D3F3008C 1E32D1B8
	buffer_load_dword v78, s[20:23], 0 offen lds               // 00000000C138: E0511000 8005004E
	s_add_u32 m0, 0xd00, s48                                   // 00000000C140: 807C30FF 00000D00
	v_mfma_f32_16x16x32_fp8_fp8 v[140:143], a[186:187], a[106:107], v[140:143]// 00000000C148: D3F3008C 1E32D5BA
	v_mfma_f32_16x16x32_fp8_fp8 v[140:143], a[188:189], a[108:109], v[140:143]// 00000000C150: D3F3008C 1E32D9BC
	buffer_load_dword v79, s[20:23], 0 offen lds               // 00000000C158: E0511000 8005004F
	s_add_u32 m0, 0xe00, s48                                   // 00000000C160: 807C30FF 00000E00
	v_mfma_f32_16x16x32_fp8_fp8 v[140:143], a[190:191], a[110:111], v[140:143]// 00000000C168: D3F3008C 1E32DDBE
	v_mfma_f32_16x16x32_fp8_fp8 v[108:111], a[176:177], a[112:113], v[108:111]// 00000000C170: D3F3006C 1DB2E1B0
	buffer_load_dword v80, s[20:23], 0 offen lds               // 00000000C178: E0511000 80050050
	s_add_u32 m0, 0xf00, s48                                   // 00000000C180: 807C30FF 00000F00
	v_mfma_f32_16x16x32_fp8_fp8 v[108:111], a[178:179], a[114:115], v[108:111]// 00000000C188: D3F3006C 1DB2E5B2
	v_mfma_f32_16x16x32_fp8_fp8 v[108:111], a[180:181], a[116:117], v[108:111]// 00000000C190: D3F3006C 1DB2E9B4
	buffer_load_dword v81, s[20:23], 0 offen lds               // 00000000C198: E0511000 80050051
	s_add_u32 m0, 0x1000, s48                                  // 00000000C1A0: 807C30FF 00001000
	v_mfma_f32_16x16x32_fp8_fp8 v[108:111], a[182:183], a[118:119], v[108:111]// 00000000C1A8: D3F3006C 1DB2EDB6
	v_mfma_f32_16x16x32_fp8_fp8 v[144:147], a[184:185], a[112:113], v[144:147]// 00000000C1B0: D3F30090 1E42E1B8
	buffer_load_dword v82, s[20:23], 0 offen lds               // 00000000C1B8: E0511000 80050052
	s_add_u32 m0, 0x1100, s48                                  // 00000000C1C0: 807C30FF 00001100
	v_mfma_f32_16x16x32_fp8_fp8 v[144:147], a[186:187], a[114:115], v[144:147]// 00000000C1C8: D3F30090 1E42E5BA
	v_mfma_f32_16x16x32_fp8_fp8 v[144:147], a[188:189], a[116:117], v[144:147]// 00000000C1D0: D3F30090 1E42E9BC
	buffer_load_dword v83, s[20:23], 0 offen lds               // 00000000C1D8: E0511000 80050053
	s_add_u32 m0, 0, s49                                       // 00000000C1E0: 807C3180
	v_mfma_f32_16x16x32_fp8_fp8 v[144:147], a[190:191], a[118:119], v[144:147]// 00000000C1E4: D3F30090 1E42EDBE
	v_mfma_f32_16x16x32_fp8_fp8 v[112:115], a[176:177], a[120:121], v[112:115]// 00000000C1EC: D3F30070 1DC2F1B0
	v_mfma_f32_16x16x32_fp8_fp8 v[112:115], a[178:179], a[122:123], v[112:115]// 00000000C1F4: D3F30070 1DC2F5B2
	v_mfma_f32_16x16x32_fp8_fp8 v[112:115], a[180:181], a[124:125], v[112:115]// 00000000C1FC: D3F30070 1DC2F9B4
	v_mfma_f32_16x16x32_fp8_fp8 v[112:115], a[182:183], a[126:127], v[112:115]// 00000000C204: D3F30070 1DC2FDB6
	v_mfma_f32_16x16x32_fp8_fp8 v[148:151], a[184:185], a[120:121], v[148:151]// 00000000C20C: D3F30094 1E52F1B8
	v_mfma_f32_16x16x32_fp8_fp8 v[148:151], a[186:187], a[122:123], v[148:151]// 00000000C214: D3F30094 1E52F5BA
	v_mfma_f32_16x16x32_fp8_fp8 v[148:151], a[188:189], a[124:125], v[148:151]// 00000000C21C: D3F30094 1E52F9BC
	v_mfma_f32_16x16x32_fp8_fp8 v[148:151], a[190:191], a[126:127], v[148:151]// 00000000C224: D3F30094 1E52FDBE
	v_mfma_f32_16x16x32_fp8_fp8 v[116:119], a[176:177], a[128:129], v[116:119]// 00000000C22C: D3F30074 1DD301B0
	v_mfma_f32_16x16x32_fp8_fp8 v[116:119], a[178:179], a[130:131], v[116:119]// 00000000C234: D3F30074 1DD305B2
	v_mfma_f32_16x16x32_fp8_fp8 v[116:119], a[180:181], a[132:133], v[116:119]// 00000000C23C: D3F30074 1DD309B4
	v_mfma_f32_16x16x32_fp8_fp8 v[116:119], a[182:183], a[134:135], v[116:119]// 00000000C244: D3F30074 1DD30DB6
	v_mfma_f32_16x16x32_fp8_fp8 v[152:155], a[184:185], a[128:129], v[152:155]// 00000000C24C: D3F30098 1E6301B8
	v_mfma_f32_16x16x32_fp8_fp8 v[152:155], a[186:187], a[130:131], v[152:155]// 00000000C254: D3F30098 1E6305BA
	v_mfma_f32_16x16x32_fp8_fp8 v[152:155], a[188:189], a[132:133], v[152:155]// 00000000C25C: D3F30098 1E6309BC
	v_mfma_f32_16x16x32_fp8_fp8 v[152:155], a[190:191], a[134:135], v[152:155]// 00000000C264: D3F30098 1E630DBE
	v_mfma_f32_16x16x32_fp8_fp8 v[120:123], a[176:177], a[136:137], v[120:123]// 00000000C26C: D3F30078 1DE311B0
	v_mfma_f32_16x16x32_fp8_fp8 v[120:123], a[178:179], a[138:139], v[120:123]// 00000000C274: D3F30078 1DE315B2
	v_mfma_f32_16x16x32_fp8_fp8 v[120:123], a[180:181], a[140:141], v[120:123]// 00000000C27C: D3F30078 1DE319B4
	v_mfma_f32_16x16x32_fp8_fp8 v[120:123], a[182:183], a[142:143], v[120:123]// 00000000C284: D3F30078 1DE31DB6
	v_mfma_f32_16x16x32_fp8_fp8 v[156:159], a[184:185], a[136:137], v[156:159]// 00000000C28C: D3F3009C 1E7311B8
	v_mfma_f32_16x16x32_fp8_fp8 v[156:159], a[186:187], a[138:139], v[156:159]// 00000000C294: D3F3009C 1E7315BA
	v_mfma_f32_16x16x32_fp8_fp8 v[156:159], a[188:189], a[140:141], v[156:159]// 00000000C29C: D3F3009C 1E7319BC
	v_mfma_f32_16x16x32_fp8_fp8 v[156:159], a[190:191], a[142:143], v[156:159]// 00000000C2A4: D3F3009C 1E731DBE
	s_waitcnt vmcnt(22)                                        // 00000000C2AC: BF8C4F76
	s_barrier                                                  // 00000000C2B0: BF8A0000
	v_mfma_f32_16x16x32_fp8_fp8 v[160:163], a[144:145], a[72:73], v[160:163]// 00000000C2B4: D3F300A0 1E829190
	buffer_load_dwordx4 a[176:179], v84, s[84:87], 0 offen     // 00000000C2BC: E05C1000 8095B054
	v_mfma_f32_16x16x32_fp8_fp8 v[160:163], a[146:147], a[74:75], v[160:163]// 00000000C2C4: D3F300A0 1E829592
	v_mfma_f32_16x16x32_fp8_fp8 v[160:163], a[148:149], a[76:77], v[160:163]// 00000000C2CC: D3F300A0 1E829994
	ds_read_b128 a[0:3], v2 offset:37120                       // 00000000C2D4: DBFE9100 00000002
	ds_read_b128 a[4:7], v2 offset:37184                       // 00000000C2DC: DBFE9140 04000002
	v_mfma_f32_16x16x32_fp8_fp8 v[160:163], a[150:151], a[78:79], v[160:163]// 00000000C2E4: D3F300A0 1E829D96
	v_mfma_f32_16x16x32_fp8_fp8 v[196:199], a[152:153], a[72:73], v[196:199]// 00000000C2EC: D3F300C4 1F129198
	buffer_load_dwordx4 a[180:183], v84, s[84:87], 0 offen offset:1024// 00000000C2F4: E05C1400 8095B454
	v_mfma_f32_16x16x32_fp8_fp8 v[196:199], a[154:155], a[74:75], v[196:199]// 00000000C2FC: D3F300C4 1F12959A
	v_mfma_f32_16x16x32_fp8_fp8 v[196:199], a[156:157], a[76:77], v[196:199]// 00000000C304: D3F300C4 1F12999C
	ds_read_b128 a[8:11], v2 offset:37632                      // 00000000C30C: DBFE9300 08000002
	ds_read_b128 a[12:15], v2 offset:37696                     // 00000000C314: DBFE9340 0C000002
	v_mfma_f32_16x16x32_fp8_fp8 v[196:199], a[158:159], a[78:79], v[196:199]// 00000000C31C: D3F300C4 1F129D9E
	v_mfma_f32_16x16x32_fp8_fp8 v[164:167], a[144:145], a[80:81], v[164:167]// 00000000C324: D3F300A4 1E92A190
	buffer_load_dwordx4 a[184:187], v85, s[84:87], 0 offen     // 00000000C32C: E05C1000 8095B855
	v_mfma_f32_16x16x32_fp8_fp8 v[164:167], a[146:147], a[82:83], v[164:167]// 00000000C334: D3F300A4 1E92A592
	v_mfma_f32_16x16x32_fp8_fp8 v[164:167], a[148:149], a[84:85], v[164:167]// 00000000C33C: D3F300A4 1E92A994
	ds_read_b128 a[16:19], v2 offset:38144                     // 00000000C344: DBFE9500 10000002
	ds_read_b128 a[20:23], v2 offset:38208                     // 00000000C34C: DBFE9540 14000002
	v_mfma_f32_16x16x32_fp8_fp8 v[164:167], a[150:151], a[86:87], v[164:167]// 00000000C354: D3F300A4 1E92AD96
	v_mfma_f32_16x16x32_fp8_fp8 v[200:203], a[152:153], a[80:81], v[200:203]// 00000000C35C: D3F300C8 1F22A198
	buffer_load_dwordx4 a[188:191], v85, s[84:87], 0 offen offset:1024// 00000000C364: E05C1400 8095BC55
	v_mfma_f32_16x16x32_fp8_fp8 v[200:203], a[154:155], a[82:83], v[200:203]// 00000000C36C: D3F300C8 1F22A59A
	v_mfma_f32_16x16x32_fp8_fp8 v[200:203], a[156:157], a[84:85], v[200:203]// 00000000C374: D3F300C8 1F22A99C
	ds_read_b128 a[24:27], v2 offset:38656                     // 00000000C37C: DBFE9700 18000002
	ds_read_b128 a[28:31], v2 offset:38720                     // 00000000C384: DBFE9740 1C000002
	v_mfma_f32_16x16x32_fp8_fp8 v[200:203], a[158:159], a[86:87], v[200:203]// 00000000C38C: D3F300C8 1F22AD9E
	v_mfma_f32_16x16x32_fp8_fp8 v[168:171], a[144:145], a[88:89], v[168:171]// 00000000C394: D3F300A8 1EA2B190
	v_mfma_f32_16x16x32_fp8_fp8 v[168:171], a[146:147], a[90:91], v[168:171]// 00000000C39C: D3F300A8 1EA2B592
	v_mfma_f32_16x16x32_fp8_fp8 v[168:171], a[148:149], a[92:93], v[168:171]// 00000000C3A4: D3F300A8 1EA2B994
	ds_read_b128 a[32:35], v2 offset:39168                     // 00000000C3AC: DBFE9900 20000002
	ds_read_b128 a[36:39], v2 offset:39232                     // 00000000C3B4: DBFE9940 24000002
	v_mfma_f32_16x16x32_fp8_fp8 v[168:171], a[150:151], a[94:95], v[168:171]// 00000000C3BC: D3F300A8 1EA2BD96
	v_mfma_f32_16x16x32_fp8_fp8 v[204:207], a[152:153], a[88:89], v[204:207]// 00000000C3C4: D3F300CC 1F32B198
	v_mfma_f32_16x16x32_fp8_fp8 v[204:207], a[154:155], a[90:91], v[204:207]// 00000000C3CC: D3F300CC 1F32B59A
	v_mfma_f32_16x16x32_fp8_fp8 v[204:207], a[156:157], a[92:93], v[204:207]// 00000000C3D4: D3F300CC 1F32B99C
	ds_read_b128 a[40:43], v2 offset:39680                     // 00000000C3DC: DBFE9B00 28000002
	ds_read_b128 a[44:47], v2 offset:39744                     // 00000000C3E4: DBFE9B40 2C000002
	v_mfma_f32_16x16x32_fp8_fp8 v[204:207], a[158:159], a[94:95], v[204:207]// 00000000C3EC: D3F300CC 1F32BD9E
	v_mfma_f32_16x16x32_fp8_fp8 v[172:175], a[144:145], a[96:97], v[172:175]// 00000000C3F4: D3F300AC 1EB2C190
	v_mfma_f32_16x16x32_fp8_fp8 v[172:175], a[146:147], a[98:99], v[172:175]// 00000000C3FC: D3F300AC 1EB2C592
	v_mfma_f32_16x16x32_fp8_fp8 v[172:175], a[148:149], a[100:101], v[172:175]// 00000000C404: D3F300AC 1EB2C994
	ds_read_b128 a[48:51], v2 offset:40192                     // 00000000C40C: DBFE9D00 30000002
	ds_read_b128 a[52:55], v2 offset:40256                     // 00000000C414: DBFE9D40 34000002
	v_mfma_f32_16x16x32_fp8_fp8 v[172:175], a[150:151], a[102:103], v[172:175]// 00000000C41C: D3F300AC 1EB2CD96
	v_mfma_f32_16x16x32_fp8_fp8 v[208:211], a[152:153], a[96:97], v[208:211]// 00000000C424: D3F300D0 1F42C198
	v_mfma_f32_16x16x32_fp8_fp8 v[208:211], a[154:155], a[98:99], v[208:211]// 00000000C42C: D3F300D0 1F42C59A
	v_mfma_f32_16x16x32_fp8_fp8 v[208:211], a[156:157], a[100:101], v[208:211]// 00000000C434: D3F300D0 1F42C99C
	ds_read_b128 a[56:59], v2 offset:40704                     // 00000000C43C: DBFE9F00 38000002
	ds_read_b128 a[60:63], v2 offset:40768                     // 00000000C444: DBFE9F40 3C000002
	v_mfma_f32_16x16x32_fp8_fp8 v[208:211], a[158:159], a[102:103], v[208:211]// 00000000C44C: D3F300D0 1F42CD9E
	v_mfma_f32_16x16x32_fp8_fp8 v[176:179], a[144:145], a[104:105], v[176:179]// 00000000C454: D3F300B0 1EC2D190
	v_mfma_f32_16x16x32_fp8_fp8 v[176:179], a[146:147], a[106:107], v[176:179]// 00000000C45C: D3F300B0 1EC2D592
	v_mfma_f32_16x16x32_fp8_fp8 v[176:179], a[148:149], a[108:109], v[176:179]// 00000000C464: D3F300B0 1EC2D994
	ds_read_b128 a[64:67], v2 offset:41216                     // 00000000C46C: DBFEA100 40000002
	ds_read_b128 a[68:71], v2 offset:41280                     // 00000000C474: DBFEA140 44000002
	v_mfma_f32_16x16x32_fp8_fp8 v[176:179], a[150:151], a[110:111], v[176:179]// 00000000C47C: D3F300B0 1EC2DD96
	v_mfma_f32_16x16x32_fp8_fp8 v[212:215], a[152:153], a[104:105], v[212:215]// 00000000C484: D3F300D4 1F52D198
	v_mfma_f32_16x16x32_fp8_fp8 v[212:215], a[154:155], a[106:107], v[212:215]// 00000000C48C: D3F300D4 1F52D59A
	v_mfma_f32_16x16x32_fp8_fp8 v[212:215], a[156:157], a[108:109], v[212:215]// 00000000C494: D3F300D4 1F52D99C
	v_mfma_f32_16x16x32_fp8_fp8 v[212:215], a[158:159], a[110:111], v[212:215]// 00000000C49C: D3F300D4 1F52DD9E
	v_mfma_f32_16x16x32_fp8_fp8 v[180:183], a[144:145], a[112:113], v[180:183]// 00000000C4A4: D3F300B4 1ED2E190
	v_mfma_f32_16x16x32_fp8_fp8 v[180:183], a[146:147], a[114:115], v[180:183]// 00000000C4AC: D3F300B4 1ED2E592
	v_mfma_f32_16x16x32_fp8_fp8 v[180:183], a[148:149], a[116:117], v[180:183]// 00000000C4B4: D3F300B4 1ED2E994
	v_mfma_f32_16x16x32_fp8_fp8 v[180:183], a[150:151], a[118:119], v[180:183]// 00000000C4BC: D3F300B4 1ED2ED96
	v_mfma_f32_16x16x32_fp8_fp8 v[216:219], a[152:153], a[112:113], v[216:219]// 00000000C4C4: D3F300D8 1F62E198
	v_mfma_f32_16x16x32_fp8_fp8 v[216:219], a[154:155], a[114:115], v[216:219]// 00000000C4CC: D3F300D8 1F62E59A
	v_mfma_f32_16x16x32_fp8_fp8 v[216:219], a[156:157], a[116:117], v[216:219]// 00000000C4D4: D3F300D8 1F62E99C
	v_mfma_f32_16x16x32_fp8_fp8 v[216:219], a[158:159], a[118:119], v[216:219]// 00000000C4DC: D3F300D8 1F62ED9E
	v_mfma_f32_16x16x32_fp8_fp8 v[184:187], a[144:145], a[120:121], v[184:187]// 00000000C4E4: D3F300B8 1EE2F190
	v_mfma_f32_16x16x32_fp8_fp8 v[184:187], a[146:147], a[122:123], v[184:187]// 00000000C4EC: D3F300B8 1EE2F592
	v_mfma_f32_16x16x32_fp8_fp8 v[184:187], a[148:149], a[124:125], v[184:187]// 00000000C4F4: D3F300B8 1EE2F994
	v_mfma_f32_16x16x32_fp8_fp8 v[184:187], a[150:151], a[126:127], v[184:187]// 00000000C4FC: D3F300B8 1EE2FD96
	v_mfma_f32_16x16x32_fp8_fp8 v[220:223], a[152:153], a[120:121], v[220:223]// 00000000C504: D3F300DC 1F72F198
	v_mfma_f32_16x16x32_fp8_fp8 v[220:223], a[154:155], a[122:123], v[220:223]// 00000000C50C: D3F300DC 1F72F59A
	v_mfma_f32_16x16x32_fp8_fp8 v[220:223], a[156:157], a[124:125], v[220:223]// 00000000C514: D3F300DC 1F72F99C
	v_mfma_f32_16x16x32_fp8_fp8 v[220:223], a[158:159], a[126:127], v[220:223]// 00000000C51C: D3F300DC 1F72FD9E
	v_mfma_f32_16x16x32_fp8_fp8 v[188:191], a[144:145], a[128:129], v[188:191]// 00000000C524: D3F300BC 1EF30190
	v_mfma_f32_16x16x32_fp8_fp8 v[188:191], a[146:147], a[130:131], v[188:191]// 00000000C52C: D3F300BC 1EF30592
	v_mfma_f32_16x16x32_fp8_fp8 v[188:191], a[148:149], a[132:133], v[188:191]// 00000000C534: D3F300BC 1EF30994
	v_mfma_f32_16x16x32_fp8_fp8 v[188:191], a[150:151], a[134:135], v[188:191]// 00000000C53C: D3F300BC 1EF30D96
	v_mfma_f32_16x16x32_fp8_fp8 v[224:227], a[152:153], a[128:129], v[224:227]// 00000000C544: D3F300E0 1F830198
	v_mfma_f32_16x16x32_fp8_fp8 v[224:227], a[154:155], a[130:131], v[224:227]// 00000000C54C: D3F300E0 1F83059A
	v_mfma_f32_16x16x32_fp8_fp8 v[224:227], a[156:157], a[132:133], v[224:227]// 00000000C554: D3F300E0 1F83099C
	v_mfma_f32_16x16x32_fp8_fp8 v[224:227], a[158:159], a[134:135], v[224:227]// 00000000C55C: D3F300E0 1F830D9E
	v_mfma_f32_16x16x32_fp8_fp8 v[192:195], a[144:145], a[136:137], v[192:195]// 00000000C564: D3F300C0 1F031190
	s_add_u32 s60, 0x180, s80                                  // 00000000C56C: 803C50FF 00000180
	s_cmp_lt_u32 s60, s81                                      // 00000000C574: BF0A513C
	s_cselect_b32 s57, s57, 0                                  // 00000000C578: 85398039
	v_mfma_f32_16x16x32_fp8_fp8 v[192:195], a[146:147], a[138:139], v[192:195]// 00000000C57C: D3F300C0 1F031592
	s_add_u32 s60, 0x100, s80                                  // 00000000C584: 803C50FF 00000100
	s_cmp_lt_u32 s60, s81                                      // 00000000C58C: BF0A513C
	s_cselect_b32 s58, s58, 0                                  // 00000000C590: 853A803A
	v_mfma_f32_16x16x32_fp8_fp8 v[192:195], a[148:149], a[140:141], v[192:195]// 00000000C594: D3F300C0 1F031994
	s_add_u32 s60, 0x100, s80                                  // 00000000C59C: 803C50FF 00000100
	s_cmp_lt_u32 s60, s81                                      // 00000000C5A4: BF0A513C
	s_cselect_b32 s83, s83, 0                                  // 00000000C5A8: 85538053
	v_mfma_f32_16x16x32_fp8_fp8 v[192:195], a[150:151], a[142:143], v[192:195]// 00000000C5AC: D3F300C0 1F031D96
	s_add_u32 s24, s58, s24                                    // 00000000C5B4: 8018183A
	s_addc_u32 s25, 0, s25                                     // 00000000C5B8: 82191980
	v_mfma_f32_16x16x32_fp8_fp8 v[228:231], a[152:153], a[136:137], v[228:231]// 00000000C5BC: D3F300E4 1F931198
	s_add_u32 s20, s57, s20                                    // 00000000C5C4: 80141439
	s_addc_u32 s21, 0, s21                                     // 00000000C5C8: 82151580
	v_mfma_f32_16x16x32_fp8_fp8 v[228:231], a[154:155], a[138:139], v[228:231]// 00000000C5CC: D3F300E4 1F93159A
	s_add_u32 s84, s83, s84                                    // 00000000C5D4: 80545453
	s_addc_u32 s85, 0, s85                                     // 00000000C5D8: 82555580
	v_mfma_f32_16x16x32_fp8_fp8 v[228:231], a[156:157], a[140:141], v[228:231]// 00000000C5DC: D3F300E4 1F93199C
	v_mfma_f32_16x16x32_fp8_fp8 v[228:231], a[158:159], a[142:143], v[228:231]// 00000000C5E4: D3F300E4 1F931D9E
	s_addk_i32 s80, 0x80                                       // 00000000C5EC: B7500080
	s_cmp_lt_i32 s80, s81                                      // 00000000C5F0: BF045150
	s_cbranch_scc0 label_2DCE                                  // 00000000C5F4: BF8406CD
	s_waitcnt vmcnt(22) lgkmcnt(0)                             // 00000000C5F8: BF8C4076
	v_mfma_f32_16x16x32_fp8_fp8 v[88:91], a[160:161], a[0:1], v[88:91]// 00000000C5FC: D3F30058 1D6201A0
	buffer_load_dwordx4 a[144:147], v84, s[24:27], 0 offen     // 00000000C604: E05C1000 80869054
	v_mfma_f32_16x16x32_fp8_fp8 v[88:91], a[162:163], a[2:3], v[88:91]// 00000000C60C: D3F30058 1D6205A2
	v_mfma_f32_16x16x32_fp8_fp8 v[88:91], a[164:165], a[4:5], v[88:91]// 00000000C614: D3F30058 1D6209A4
	v_mfma_f32_16x16x32_fp8_fp8 v[88:91], a[166:167], a[6:7], v[88:91]// 00000000C61C: D3F30058 1D620DA6
	v_mfma_f32_16x16x32_fp8_fp8 v[124:127], a[168:169], a[0:1], v[124:127]// 00000000C624: D3F3007C 1DF201A8
	buffer_load_dwordx4 a[148:151], v84, s[24:27], 0 offen offset:1024// 00000000C62C: E05C1400 80869454
	v_mfma_f32_16x16x32_fp8_fp8 v[124:127], a[170:171], a[2:3], v[124:127]// 00000000C634: D3F3007C 1DF205AA
	v_mfma_f32_16x16x32_fp8_fp8 v[124:127], a[172:173], a[4:5], v[124:127]// 00000000C63C: D3F3007C 1DF209AC
	v_mfma_f32_16x16x32_fp8_fp8 v[124:127], a[174:175], a[6:7], v[124:127]// 00000000C644: D3F3007C 1DF20DAE
	v_mfma_f32_16x16x32_fp8_fp8 v[92:95], a[160:161], a[8:9], v[92:95]// 00000000C64C: D3F3005C 1D7211A0
	buffer_load_dwordx4 a[152:155], v85, s[24:27], 0 offen     // 00000000C654: E05C1000 80869855
	v_mfma_f32_16x16x32_fp8_fp8 v[92:95], a[162:163], a[10:11], v[92:95]// 00000000C65C: D3F3005C 1D7215A2
	v_mfma_f32_16x16x32_fp8_fp8 v[92:95], a[164:165], a[12:13], v[92:95]// 00000000C664: D3F3005C 1D7219A4
	v_mfma_f32_16x16x32_fp8_fp8 v[92:95], a[166:167], a[14:15], v[92:95]// 00000000C66C: D3F3005C 1D721DA6
	v_mfma_f32_16x16x32_fp8_fp8 v[128:131], a[168:169], a[8:9], v[128:131]// 00000000C674: D3F30080 1E0211A8
	buffer_load_dwordx4 a[156:159], v85, s[24:27], 0 offen offset:1024// 00000000C67C: E05C1400 80869C55
	buffer_load_dword v66, s[20:23], 0 offen lds               // 00000000C684: E0511000 80050042
	s_add_u32 m0, 0x100, s49                                   // 00000000C68C: 807C31FF 00000100
	v_mfma_f32_16x16x32_fp8_fp8 v[128:131], a[170:171], a[10:11], v[128:131]// 00000000C694: D3F30080 1E0215AA
	v_mfma_f32_16x16x32_fp8_fp8 v[128:131], a[172:173], a[12:13], v[128:131]// 00000000C69C: D3F30080 1E0219AC
	buffer_load_dword v67, s[20:23], 0 offen lds               // 00000000C6A4: E0511000 80050043
	s_add_u32 m0, 0x200, s49                                   // 00000000C6AC: 807C31FF 00000200
	v_mfma_f32_16x16x32_fp8_fp8 v[128:131], a[174:175], a[14:15], v[128:131]// 00000000C6B4: D3F30080 1E021DAE
	v_mfma_f32_16x16x32_fp8_fp8 v[96:99], a[160:161], a[16:17], v[96:99]// 00000000C6BC: D3F30060 1D8221A0
	buffer_load_dword v68, s[20:23], 0 offen lds               // 00000000C6C4: E0511000 80050044
	s_add_u32 m0, 0x300, s49                                   // 00000000C6CC: 807C31FF 00000300
	v_mfma_f32_16x16x32_fp8_fp8 v[96:99], a[162:163], a[18:19], v[96:99]// 00000000C6D4: D3F30060 1D8225A2
	v_mfma_f32_16x16x32_fp8_fp8 v[96:99], a[164:165], a[20:21], v[96:99]// 00000000C6DC: D3F30060 1D8229A4
	buffer_load_dword v69, s[20:23], 0 offen lds               // 00000000C6E4: E0511000 80050045
	s_add_u32 m0, 0x400, s49                                   // 00000000C6EC: 807C31FF 00000400
	v_mfma_f32_16x16x32_fp8_fp8 v[96:99], a[166:167], a[22:23], v[96:99]// 00000000C6F4: D3F30060 1D822DA6
	v_mfma_f32_16x16x32_fp8_fp8 v[132:135], a[168:169], a[16:17], v[132:135]// 00000000C6FC: D3F30084 1E1221A8
	buffer_load_dword v70, s[20:23], 0 offen lds               // 00000000C704: E0511000 80050046
	s_add_u32 m0, 0x500, s49                                   // 00000000C70C: 807C31FF 00000500
	v_mfma_f32_16x16x32_fp8_fp8 v[132:135], a[170:171], a[18:19], v[132:135]// 00000000C714: D3F30084 1E1225AA
	v_mfma_f32_16x16x32_fp8_fp8 v[132:135], a[172:173], a[20:21], v[132:135]// 00000000C71C: D3F30084 1E1229AC
	buffer_load_dword v71, s[20:23], 0 offen lds               // 00000000C724: E0511000 80050047
	s_add_u32 m0, 0x600, s49                                   // 00000000C72C: 807C31FF 00000600
	v_mfma_f32_16x16x32_fp8_fp8 v[132:135], a[174:175], a[22:23], v[132:135]// 00000000C734: D3F30084 1E122DAE
	v_mfma_f32_16x16x32_fp8_fp8 v[100:103], a[160:161], a[24:25], v[100:103]// 00000000C73C: D3F30064 1D9231A0
	buffer_load_dword v72, s[20:23], 0 offen lds               // 00000000C744: E0511000 80050048
	s_add_u32 m0, 0x700, s49                                   // 00000000C74C: 807C31FF 00000700
	v_mfma_f32_16x16x32_fp8_fp8 v[100:103], a[162:163], a[26:27], v[100:103]// 00000000C754: D3F30064 1D9235A2
	v_mfma_f32_16x16x32_fp8_fp8 v[100:103], a[164:165], a[28:29], v[100:103]// 00000000C75C: D3F30064 1D9239A4
	buffer_load_dword v73, s[20:23], 0 offen lds               // 00000000C764: E0511000 80050049
	s_add_u32 m0, 0x800, s49                                   // 00000000C76C: 807C31FF 00000800
	v_mfma_f32_16x16x32_fp8_fp8 v[100:103], a[166:167], a[30:31], v[100:103]// 00000000C774: D3F30064 1D923DA6
	v_mfma_f32_16x16x32_fp8_fp8 v[136:139], a[168:169], a[24:25], v[136:139]// 00000000C77C: D3F30088 1E2231A8
	buffer_load_dword v74, s[20:23], 0 offen lds               // 00000000C784: E0511000 8005004A
	s_add_u32 m0, 0x900, s49                                   // 00000000C78C: 807C31FF 00000900
	v_mfma_f32_16x16x32_fp8_fp8 v[136:139], a[170:171], a[26:27], v[136:139]// 00000000C794: D3F30088 1E2235AA
	v_mfma_f32_16x16x32_fp8_fp8 v[136:139], a[172:173], a[28:29], v[136:139]// 00000000C79C: D3F30088 1E2239AC
	buffer_load_dword v75, s[20:23], 0 offen lds               // 00000000C7A4: E0511000 8005004B
	s_add_u32 m0, 0xa00, s49                                   // 00000000C7AC: 807C31FF 00000A00
	v_mfma_f32_16x16x32_fp8_fp8 v[136:139], a[174:175], a[30:31], v[136:139]// 00000000C7B4: D3F30088 1E223DAE
	v_mfma_f32_16x16x32_fp8_fp8 v[104:107], a[160:161], a[32:33], v[104:107]// 00000000C7BC: D3F30068 1DA241A0
	buffer_load_dword v76, s[20:23], 0 offen lds               // 00000000C7C4: E0511000 8005004C
	s_add_u32 m0, 0xb00, s49                                   // 00000000C7CC: 807C31FF 00000B00
	v_mfma_f32_16x16x32_fp8_fp8 v[104:107], a[162:163], a[34:35], v[104:107]// 00000000C7D4: D3F30068 1DA245A2
	v_mfma_f32_16x16x32_fp8_fp8 v[104:107], a[164:165], a[36:37], v[104:107]// 00000000C7DC: D3F30068 1DA249A4
	buffer_load_dword v77, s[20:23], 0 offen lds               // 00000000C7E4: E0511000 8005004D
	s_add_u32 m0, 0xc00, s49                                   // 00000000C7EC: 807C31FF 00000C00
	v_mfma_f32_16x16x32_fp8_fp8 v[104:107], a[166:167], a[38:39], v[104:107]// 00000000C7F4: D3F30068 1DA24DA6
	v_mfma_f32_16x16x32_fp8_fp8 v[140:143], a[168:169], a[32:33], v[140:143]// 00000000C7FC: D3F3008C 1E3241A8
	buffer_load_dword v78, s[20:23], 0 offen lds               // 00000000C804: E0511000 8005004E
	s_add_u32 m0, 0xd00, s49                                   // 00000000C80C: 807C31FF 00000D00
	v_mfma_f32_16x16x32_fp8_fp8 v[140:143], a[170:171], a[34:35], v[140:143]// 00000000C814: D3F3008C 1E3245AA
	v_mfma_f32_16x16x32_fp8_fp8 v[140:143], a[172:173], a[36:37], v[140:143]// 00000000C81C: D3F3008C 1E3249AC
	buffer_load_dword v79, s[20:23], 0 offen lds               // 00000000C824: E0511000 8005004F
	s_add_u32 m0, 0xe00, s49                                   // 00000000C82C: 807C31FF 00000E00
	v_mfma_f32_16x16x32_fp8_fp8 v[140:143], a[174:175], a[38:39], v[140:143]// 00000000C834: D3F3008C 1E324DAE
	v_mfma_f32_16x16x32_fp8_fp8 v[108:111], a[160:161], a[40:41], v[108:111]// 00000000C83C: D3F3006C 1DB251A0
	buffer_load_dword v80, s[20:23], 0 offen lds               // 00000000C844: E0511000 80050050
	s_add_u32 m0, 0xf00, s49                                   // 00000000C84C: 807C31FF 00000F00
	v_mfma_f32_16x16x32_fp8_fp8 v[108:111], a[162:163], a[42:43], v[108:111]// 00000000C854: D3F3006C 1DB255A2
	v_mfma_f32_16x16x32_fp8_fp8 v[108:111], a[164:165], a[44:45], v[108:111]// 00000000C85C: D3F3006C 1DB259A4
	buffer_load_dword v81, s[20:23], 0 offen lds               // 00000000C864: E0511000 80050051
	s_add_u32 m0, 0x1000, s49                                  // 00000000C86C: 807C31FF 00001000
	v_mfma_f32_16x16x32_fp8_fp8 v[108:111], a[166:167], a[46:47], v[108:111]// 00000000C874: D3F3006C 1DB25DA6
	v_mfma_f32_16x16x32_fp8_fp8 v[144:147], a[168:169], a[40:41], v[144:147]// 00000000C87C: D3F30090 1E4251A8
	buffer_load_dword v82, s[20:23], 0 offen lds               // 00000000C884: E0511000 80050052
	s_add_u32 m0, 0x1100, s49                                  // 00000000C88C: 807C31FF 00001100
	v_mfma_f32_16x16x32_fp8_fp8 v[144:147], a[170:171], a[42:43], v[144:147]// 00000000C894: D3F30090 1E4255AA
	v_mfma_f32_16x16x32_fp8_fp8 v[144:147], a[172:173], a[44:45], v[144:147]// 00000000C89C: D3F30090 1E4259AC
	buffer_load_dword v83, s[20:23], 0 offen lds               // 00000000C8A4: E0511000 80050053
	s_add_u32 m0, 0, s50                                       // 00000000C8AC: 807C3280
	v_mfma_f32_16x16x32_fp8_fp8 v[144:147], a[174:175], a[46:47], v[144:147]// 00000000C8B0: D3F30090 1E425DAE
	v_mfma_f32_16x16x32_fp8_fp8 v[112:115], a[160:161], a[48:49], v[112:115]// 00000000C8B8: D3F30070 1DC261A0
	v_mfma_f32_16x16x32_fp8_fp8 v[112:115], a[162:163], a[50:51], v[112:115]// 00000000C8C0: D3F30070 1DC265A2
	v_mfma_f32_16x16x32_fp8_fp8 v[112:115], a[164:165], a[52:53], v[112:115]// 00000000C8C8: D3F30070 1DC269A4
	v_mfma_f32_16x16x32_fp8_fp8 v[112:115], a[166:167], a[54:55], v[112:115]// 00000000C8D0: D3F30070 1DC26DA6
	v_mfma_f32_16x16x32_fp8_fp8 v[148:151], a[168:169], a[48:49], v[148:151]// 00000000C8D8: D3F30094 1E5261A8
	v_mfma_f32_16x16x32_fp8_fp8 v[148:151], a[170:171], a[50:51], v[148:151]// 00000000C8E0: D3F30094 1E5265AA
	v_mfma_f32_16x16x32_fp8_fp8 v[148:151], a[172:173], a[52:53], v[148:151]// 00000000C8E8: D3F30094 1E5269AC
	v_mfma_f32_16x16x32_fp8_fp8 v[148:151], a[174:175], a[54:55], v[148:151]// 00000000C8F0: D3F30094 1E526DAE
	v_mfma_f32_16x16x32_fp8_fp8 v[116:119], a[160:161], a[56:57], v[116:119]// 00000000C8F8: D3F30074 1DD271A0
	v_mfma_f32_16x16x32_fp8_fp8 v[116:119], a[162:163], a[58:59], v[116:119]// 00000000C900: D3F30074 1DD275A2
	v_mfma_f32_16x16x32_fp8_fp8 v[116:119], a[164:165], a[60:61], v[116:119]// 00000000C908: D3F30074 1DD279A4
	v_mfma_f32_16x16x32_fp8_fp8 v[116:119], a[166:167], a[62:63], v[116:119]// 00000000C910: D3F30074 1DD27DA6
	v_mfma_f32_16x16x32_fp8_fp8 v[152:155], a[168:169], a[56:57], v[152:155]// 00000000C918: D3F30098 1E6271A8
	v_mfma_f32_16x16x32_fp8_fp8 v[152:155], a[170:171], a[58:59], v[152:155]// 00000000C920: D3F30098 1E6275AA
	v_mfma_f32_16x16x32_fp8_fp8 v[152:155], a[172:173], a[60:61], v[152:155]// 00000000C928: D3F30098 1E6279AC
	v_mfma_f32_16x16x32_fp8_fp8 v[152:155], a[174:175], a[62:63], v[152:155]// 00000000C930: D3F30098 1E627DAE
	v_mfma_f32_16x16x32_fp8_fp8 v[120:123], a[160:161], a[64:65], v[120:123]// 00000000C938: D3F30078 1DE281A0
	v_mfma_f32_16x16x32_fp8_fp8 v[120:123], a[162:163], a[66:67], v[120:123]// 00000000C940: D3F30078 1DE285A2
	v_mfma_f32_16x16x32_fp8_fp8 v[120:123], a[164:165], a[68:69], v[120:123]// 00000000C948: D3F30078 1DE289A4
	v_mfma_f32_16x16x32_fp8_fp8 v[120:123], a[166:167], a[70:71], v[120:123]// 00000000C950: D3F30078 1DE28DA6
	v_mfma_f32_16x16x32_fp8_fp8 v[156:159], a[168:169], a[64:65], v[156:159]// 00000000C958: D3F3009C 1E7281A8
	v_mfma_f32_16x16x32_fp8_fp8 v[156:159], a[170:171], a[66:67], v[156:159]// 00000000C960: D3F3009C 1E7285AA
	v_mfma_f32_16x16x32_fp8_fp8 v[156:159], a[172:173], a[68:69], v[156:159]// 00000000C968: D3F3009C 1E7289AC
	v_mfma_f32_16x16x32_fp8_fp8 v[156:159], a[174:175], a[70:71], v[156:159]// 00000000C970: D3F3009C 1E728DAE
	s_waitcnt vmcnt(22)                                        // 00000000C978: BF8C4F76
	s_barrier                                                  // 00000000C97C: BF8A0000
	v_mfma_f32_16x16x32_fp8_fp8 v[160:163], a[176:177], a[0:1], v[160:163]// 00000000C980: D3F300A0 1E8201B0
	buffer_load_dwordx4 a[160:163], v84, s[84:87], 0 offen     // 00000000C988: E05C1000 8095A054
	v_mfma_f32_16x16x32_fp8_fp8 v[160:163], a[178:179], a[2:3], v[160:163]// 00000000C990: D3F300A0 1E8205B2
	v_mfma_f32_16x16x32_fp8_fp8 v[160:163], a[180:181], a[4:5], v[160:163]// 00000000C998: D3F300A0 1E8209B4
	ds_read_b128 a[72:75], v2                                  // 00000000C9A0: DBFE0000 48000002
	ds_read_b128 a[76:79], v2 offset:64                        // 00000000C9A8: DBFE0040 4C000002
	v_mfma_f32_16x16x32_fp8_fp8 v[160:163], a[182:183], a[6:7], v[160:163]// 00000000C9B0: D3F300A0 1E820DB6
	v_mfma_f32_16x16x32_fp8_fp8 v[196:199], a[184:185], a[0:1], v[196:199]// 00000000C9B8: D3F300C4 1F1201B8
	buffer_load_dwordx4 a[164:167], v84, s[84:87], 0 offen offset:1024// 00000000C9C0: E05C1400 8095A454
	v_mfma_f32_16x16x32_fp8_fp8 v[196:199], a[186:187], a[2:3], v[196:199]// 00000000C9C8: D3F300C4 1F1205BA
	v_mfma_f32_16x16x32_fp8_fp8 v[196:199], a[188:189], a[4:5], v[196:199]// 00000000C9D0: D3F300C4 1F1209BC
	ds_read_b128 a[80:83], v2 offset:512                       // 00000000C9D8: DBFE0200 50000002
	ds_read_b128 a[84:87], v2 offset:576                       // 00000000C9E0: DBFE0240 54000002
	v_mfma_f32_16x16x32_fp8_fp8 v[196:199], a[190:191], a[6:7], v[196:199]// 00000000C9E8: D3F300C4 1F120DBE
	v_mfma_f32_16x16x32_fp8_fp8 v[164:167], a[176:177], a[8:9], v[164:167]// 00000000C9F0: D3F300A4 1E9211B0
	buffer_load_dwordx4 a[168:171], v85, s[84:87], 0 offen     // 00000000C9F8: E05C1000 8095A855
	v_mfma_f32_16x16x32_fp8_fp8 v[164:167], a[178:179], a[10:11], v[164:167]// 00000000CA00: D3F300A4 1E9215B2
	v_mfma_f32_16x16x32_fp8_fp8 v[164:167], a[180:181], a[12:13], v[164:167]// 00000000CA08: D3F300A4 1E9219B4
	ds_read_b128 a[88:91], v2 offset:1024                      // 00000000CA10: DBFE0400 58000002
	ds_read_b128 a[92:95], v2 offset:1088                      // 00000000CA18: DBFE0440 5C000002
	v_mfma_f32_16x16x32_fp8_fp8 v[164:167], a[182:183], a[14:15], v[164:167]// 00000000CA20: D3F300A4 1E921DB6
	v_mfma_f32_16x16x32_fp8_fp8 v[200:203], a[184:185], a[8:9], v[200:203]// 00000000CA28: D3F300C8 1F2211B8
	buffer_load_dwordx4 a[172:175], v85, s[84:87], 0 offen offset:1024// 00000000CA30: E05C1400 8095AC55
	v_mfma_f32_16x16x32_fp8_fp8 v[200:203], a[186:187], a[10:11], v[200:203]// 00000000CA38: D3F300C8 1F2215BA
	v_mfma_f32_16x16x32_fp8_fp8 v[200:203], a[188:189], a[12:13], v[200:203]// 00000000CA40: D3F300C8 1F2219BC
	ds_read_b128 a[96:99], v2 offset:1536                      // 00000000CA48: DBFE0600 60000002
	ds_read_b128 a[100:103], v2 offset:1600                    // 00000000CA50: DBFE0640 64000002
	v_mfma_f32_16x16x32_fp8_fp8 v[200:203], a[190:191], a[14:15], v[200:203]// 00000000CA58: D3F300C8 1F221DBE
	v_mfma_f32_16x16x32_fp8_fp8 v[168:171], a[176:177], a[16:17], v[168:171]// 00000000CA60: D3F300A8 1EA221B0
	v_mfma_f32_16x16x32_fp8_fp8 v[168:171], a[178:179], a[18:19], v[168:171]// 00000000CA68: D3F300A8 1EA225B2
	v_mfma_f32_16x16x32_fp8_fp8 v[168:171], a[180:181], a[20:21], v[168:171]// 00000000CA70: D3F300A8 1EA229B4
	ds_read_b128 a[104:107], v2 offset:2048                    // 00000000CA78: DBFE0800 68000002
	ds_read_b128 a[108:111], v2 offset:2112                    // 00000000CA80: DBFE0840 6C000002
	v_mfma_f32_16x16x32_fp8_fp8 v[168:171], a[182:183], a[22:23], v[168:171]// 00000000CA88: D3F300A8 1EA22DB6
	v_mfma_f32_16x16x32_fp8_fp8 v[204:207], a[184:185], a[16:17], v[204:207]// 00000000CA90: D3F300CC 1F3221B8
	v_mfma_f32_16x16x32_fp8_fp8 v[204:207], a[186:187], a[18:19], v[204:207]// 00000000CA98: D3F300CC 1F3225BA
	v_mfma_f32_16x16x32_fp8_fp8 v[204:207], a[188:189], a[20:21], v[204:207]// 00000000CAA0: D3F300CC 1F3229BC
	ds_read_b128 a[112:115], v2 offset:2560                    // 00000000CAA8: DBFE0A00 70000002
	ds_read_b128 a[116:119], v2 offset:2624                    // 00000000CAB0: DBFE0A40 74000002
	v_mfma_f32_16x16x32_fp8_fp8 v[204:207], a[190:191], a[22:23], v[204:207]// 00000000CAB8: D3F300CC 1F322DBE
	v_mfma_f32_16x16x32_fp8_fp8 v[172:175], a[176:177], a[24:25], v[172:175]// 00000000CAC0: D3F300AC 1EB231B0
	v_mfma_f32_16x16x32_fp8_fp8 v[172:175], a[178:179], a[26:27], v[172:175]// 00000000CAC8: D3F300AC 1EB235B2
	v_mfma_f32_16x16x32_fp8_fp8 v[172:175], a[180:181], a[28:29], v[172:175]// 00000000CAD0: D3F300AC 1EB239B4
	ds_read_b128 a[120:123], v2 offset:3072                    // 00000000CAD8: DBFE0C00 78000002
	ds_read_b128 a[124:127], v2 offset:3136                    // 00000000CAE0: DBFE0C40 7C000002
	v_mfma_f32_16x16x32_fp8_fp8 v[172:175], a[182:183], a[30:31], v[172:175]// 00000000CAE8: D3F300AC 1EB23DB6
	v_mfma_f32_16x16x32_fp8_fp8 v[208:211], a[184:185], a[24:25], v[208:211]// 00000000CAF0: D3F300D0 1F4231B8
	v_mfma_f32_16x16x32_fp8_fp8 v[208:211], a[186:187], a[26:27], v[208:211]// 00000000CAF8: D3F300D0 1F4235BA
	v_mfma_f32_16x16x32_fp8_fp8 v[208:211], a[188:189], a[28:29], v[208:211]// 00000000CB00: D3F300D0 1F4239BC
	ds_read_b128 a[128:131], v2 offset:3584                    // 00000000CB08: DBFE0E00 80000002
	ds_read_b128 a[132:135], v2 offset:3648                    // 00000000CB10: DBFE0E40 84000002
	v_mfma_f32_16x16x32_fp8_fp8 v[208:211], a[190:191], a[30:31], v[208:211]// 00000000CB18: D3F300D0 1F423DBE
	v_mfma_f32_16x16x32_fp8_fp8 v[176:179], a[176:177], a[32:33], v[176:179]// 00000000CB20: D3F300B0 1EC241B0
	v_mfma_f32_16x16x32_fp8_fp8 v[176:179], a[178:179], a[34:35], v[176:179]// 00000000CB28: D3F300B0 1EC245B2
	v_mfma_f32_16x16x32_fp8_fp8 v[176:179], a[180:181], a[36:37], v[176:179]// 00000000CB30: D3F300B0 1EC249B4
	ds_read_b128 a[136:139], v2 offset:4096                    // 00000000CB38: DBFE1000 88000002
	ds_read_b128 a[140:143], v2 offset:4160                    // 00000000CB40: DBFE1040 8C000002
	v_mfma_f32_16x16x32_fp8_fp8 v[176:179], a[182:183], a[38:39], v[176:179]// 00000000CB48: D3F300B0 1EC24DB6
	v_mfma_f32_16x16x32_fp8_fp8 v[212:215], a[184:185], a[32:33], v[212:215]// 00000000CB50: D3F300D4 1F5241B8
	v_mfma_f32_16x16x32_fp8_fp8 v[212:215], a[186:187], a[34:35], v[212:215]// 00000000CB58: D3F300D4 1F5245BA
	v_mfma_f32_16x16x32_fp8_fp8 v[212:215], a[188:189], a[36:37], v[212:215]// 00000000CB60: D3F300D4 1F5249BC
	v_mfma_f32_16x16x32_fp8_fp8 v[212:215], a[190:191], a[38:39], v[212:215]// 00000000CB68: D3F300D4 1F524DBE
	v_mfma_f32_16x16x32_fp8_fp8 v[180:183], a[176:177], a[40:41], v[180:183]// 00000000CB70: D3F300B4 1ED251B0
	v_mfma_f32_16x16x32_fp8_fp8 v[180:183], a[178:179], a[42:43], v[180:183]// 00000000CB78: D3F300B4 1ED255B2
	v_mfma_f32_16x16x32_fp8_fp8 v[180:183], a[180:181], a[44:45], v[180:183]// 00000000CB80: D3F300B4 1ED259B4
	v_mfma_f32_16x16x32_fp8_fp8 v[180:183], a[182:183], a[46:47], v[180:183]// 00000000CB88: D3F300B4 1ED25DB6
	v_mfma_f32_16x16x32_fp8_fp8 v[216:219], a[184:185], a[40:41], v[216:219]// 00000000CB90: D3F300D8 1F6251B8
	v_mfma_f32_16x16x32_fp8_fp8 v[216:219], a[186:187], a[42:43], v[216:219]// 00000000CB98: D3F300D8 1F6255BA
	v_mfma_f32_16x16x32_fp8_fp8 v[216:219], a[188:189], a[44:45], v[216:219]// 00000000CBA0: D3F300D8 1F6259BC
	v_mfma_f32_16x16x32_fp8_fp8 v[216:219], a[190:191], a[46:47], v[216:219]// 00000000CBA8: D3F300D8 1F625DBE
	v_mfma_f32_16x16x32_fp8_fp8 v[184:187], a[176:177], a[48:49], v[184:187]// 00000000CBB0: D3F300B8 1EE261B0
	v_mfma_f32_16x16x32_fp8_fp8 v[184:187], a[178:179], a[50:51], v[184:187]// 00000000CBB8: D3F300B8 1EE265B2
	v_mfma_f32_16x16x32_fp8_fp8 v[184:187], a[180:181], a[52:53], v[184:187]// 00000000CBC0: D3F300B8 1EE269B4
	v_mfma_f32_16x16x32_fp8_fp8 v[184:187], a[182:183], a[54:55], v[184:187]// 00000000CBC8: D3F300B8 1EE26DB6
	v_mfma_f32_16x16x32_fp8_fp8 v[220:223], a[184:185], a[48:49], v[220:223]// 00000000CBD0: D3F300DC 1F7261B8
	v_mfma_f32_16x16x32_fp8_fp8 v[220:223], a[186:187], a[50:51], v[220:223]// 00000000CBD8: D3F300DC 1F7265BA
	v_mfma_f32_16x16x32_fp8_fp8 v[220:223], a[188:189], a[52:53], v[220:223]// 00000000CBE0: D3F300DC 1F7269BC
	v_mfma_f32_16x16x32_fp8_fp8 v[220:223], a[190:191], a[54:55], v[220:223]// 00000000CBE8: D3F300DC 1F726DBE
	v_mfma_f32_16x16x32_fp8_fp8 v[188:191], a[176:177], a[56:57], v[188:191]// 00000000CBF0: D3F300BC 1EF271B0
	v_mfma_f32_16x16x32_fp8_fp8 v[188:191], a[178:179], a[58:59], v[188:191]// 00000000CBF8: D3F300BC 1EF275B2
	v_mfma_f32_16x16x32_fp8_fp8 v[188:191], a[180:181], a[60:61], v[188:191]// 00000000CC00: D3F300BC 1EF279B4
	v_mfma_f32_16x16x32_fp8_fp8 v[188:191], a[182:183], a[62:63], v[188:191]// 00000000CC08: D3F300BC 1EF27DB6
	v_mfma_f32_16x16x32_fp8_fp8 v[224:227], a[184:185], a[56:57], v[224:227]// 00000000CC10: D3F300E0 1F8271B8
	v_mfma_f32_16x16x32_fp8_fp8 v[224:227], a[186:187], a[58:59], v[224:227]// 00000000CC18: D3F300E0 1F8275BA
	v_mfma_f32_16x16x32_fp8_fp8 v[224:227], a[188:189], a[60:61], v[224:227]// 00000000CC20: D3F300E0 1F8279BC
	v_mfma_f32_16x16x32_fp8_fp8 v[224:227], a[190:191], a[62:63], v[224:227]// 00000000CC28: D3F300E0 1F827DBE
	v_mfma_f32_16x16x32_fp8_fp8 v[192:195], a[176:177], a[64:65], v[192:195]// 00000000CC30: D3F300C0 1F0281B0
	s_add_u32 s60, 0x180, s80                                  // 00000000CC38: 803C50FF 00000180
	s_cmp_lt_u32 s60, s81                                      // 00000000CC40: BF0A513C
	s_cselect_b32 s57, s57, 0                                  // 00000000CC44: 85398039
	v_mfma_f32_16x16x32_fp8_fp8 v[192:195], a[178:179], a[66:67], v[192:195]// 00000000CC48: D3F300C0 1F0285B2
	s_add_u32 s60, 0x100, s80                                  // 00000000CC50: 803C50FF 00000100
	s_cmp_lt_u32 s60, s81                                      // 00000000CC58: BF0A513C
	s_cselect_b32 s58, s58, 0                                  // 00000000CC5C: 853A803A
	v_mfma_f32_16x16x32_fp8_fp8 v[192:195], a[180:181], a[68:69], v[192:195]// 00000000CC60: D3F300C0 1F0289B4
	s_add_u32 s60, 0x100, s80                                  // 00000000CC68: 803C50FF 00000100
	s_cmp_lt_u32 s60, s81                                      // 00000000CC70: BF0A513C
	s_cselect_b32 s83, s83, 0                                  // 00000000CC74: 85538053
	v_mfma_f32_16x16x32_fp8_fp8 v[192:195], a[182:183], a[70:71], v[192:195]// 00000000CC78: D3F300C0 1F028DB6
	s_add_u32 s24, s58, s24                                    // 00000000CC80: 8018183A
	s_addc_u32 s25, 0, s25                                     // 00000000CC84: 82191980
	v_mfma_f32_16x16x32_fp8_fp8 v[228:231], a[184:185], a[64:65], v[228:231]// 00000000CC88: D3F300E4 1F9281B8
	s_add_u32 s20, s57, s20                                    // 00000000CC90: 80141439
	s_addc_u32 s21, 0, s21                                     // 00000000CC94: 82151580
	v_mfma_f32_16x16x32_fp8_fp8 v[228:231], a[186:187], a[66:67], v[228:231]// 00000000CC98: D3F300E4 1F9285BA
	s_add_u32 s84, s83, s84                                    // 00000000CCA0: 80545453
	s_addc_u32 s85, 0, s85                                     // 00000000CCA4: 82555580
	v_mfma_f32_16x16x32_fp8_fp8 v[228:231], a[188:189], a[68:69], v[228:231]// 00000000CCA8: D3F300E4 1F9289BC
	v_mfma_f32_16x16x32_fp8_fp8 v[228:231], a[190:191], a[70:71], v[228:231]// 00000000CCB0: D3F300E4 1F928DBE
	s_addk_i32 s80, 0x80                                       // 00000000CCB8: B7500080
	s_cmp_lt_i32 s80, s81                                      // 00000000CCBC: BF045150
	s_cbranch_scc0 label_2DCE                                  // 00000000CCC0: BF84051A
	s_waitcnt vmcnt(22) lgkmcnt(0)                             // 00000000CCC4: BF8C4076
	v_mfma_f32_16x16x32_fp8_fp8 v[88:91], a[144:145], a[72:73], v[88:91]// 00000000CCC8: D3F30058 1D629190
	buffer_load_dwordx4 a[176:179], v84, s[24:27], 0 offen     // 00000000CCD0: E05C1000 8086B054
	v_mfma_f32_16x16x32_fp8_fp8 v[88:91], a[146:147], a[74:75], v[88:91]// 00000000CCD8: D3F30058 1D629592
	v_mfma_f32_16x16x32_fp8_fp8 v[88:91], a[148:149], a[76:77], v[88:91]// 00000000CCE0: D3F30058 1D629994
	v_mfma_f32_16x16x32_fp8_fp8 v[88:91], a[150:151], a[78:79], v[88:91]// 00000000CCE8: D3F30058 1D629D96
	v_mfma_f32_16x16x32_fp8_fp8 v[124:127], a[152:153], a[72:73], v[124:127]// 00000000CCF0: D3F3007C 1DF29198
	buffer_load_dwordx4 a[180:183], v84, s[24:27], 0 offen offset:1024// 00000000CCF8: E05C1400 8086B454
	v_mfma_f32_16x16x32_fp8_fp8 v[124:127], a[154:155], a[74:75], v[124:127]// 00000000CD00: D3F3007C 1DF2959A
	v_mfma_f32_16x16x32_fp8_fp8 v[124:127], a[156:157], a[76:77], v[124:127]// 00000000CD08: D3F3007C 1DF2999C
	v_mfma_f32_16x16x32_fp8_fp8 v[124:127], a[158:159], a[78:79], v[124:127]// 00000000CD10: D3F3007C 1DF29D9E
	v_mfma_f32_16x16x32_fp8_fp8 v[92:95], a[144:145], a[80:81], v[92:95]// 00000000CD18: D3F3005C 1D72A190
	buffer_load_dwordx4 a[184:187], v85, s[24:27], 0 offen     // 00000000CD20: E05C1000 8086B855
	v_mfma_f32_16x16x32_fp8_fp8 v[92:95], a[146:147], a[82:83], v[92:95]// 00000000CD28: D3F3005C 1D72A592
	v_mfma_f32_16x16x32_fp8_fp8 v[92:95], a[148:149], a[84:85], v[92:95]// 00000000CD30: D3F3005C 1D72A994
	v_mfma_f32_16x16x32_fp8_fp8 v[92:95], a[150:151], a[86:87], v[92:95]// 00000000CD38: D3F3005C 1D72AD96
	v_mfma_f32_16x16x32_fp8_fp8 v[128:131], a[152:153], a[80:81], v[128:131]// 00000000CD40: D3F30080 1E02A198
	buffer_load_dwordx4 a[188:191], v85, s[24:27], 0 offen offset:1024// 00000000CD48: E05C1400 8086BC55
	buffer_load_dword v66, s[20:23], 0 offen lds               // 00000000CD50: E0511000 80050042
	s_add_u32 m0, 0x100, s50                                   // 00000000CD58: 807C32FF 00000100
	v_mfma_f32_16x16x32_fp8_fp8 v[128:131], a[154:155], a[82:83], v[128:131]// 00000000CD60: D3F30080 1E02A59A
	v_mfma_f32_16x16x32_fp8_fp8 v[128:131], a[156:157], a[84:85], v[128:131]// 00000000CD68: D3F30080 1E02A99C
	buffer_load_dword v67, s[20:23], 0 offen lds               // 00000000CD70: E0511000 80050043
	s_add_u32 m0, 0x200, s50                                   // 00000000CD78: 807C32FF 00000200
	v_mfma_f32_16x16x32_fp8_fp8 v[128:131], a[158:159], a[86:87], v[128:131]// 00000000CD80: D3F30080 1E02AD9E
	v_mfma_f32_16x16x32_fp8_fp8 v[96:99], a[144:145], a[88:89], v[96:99]// 00000000CD88: D3F30060 1D82B190
	buffer_load_dword v68, s[20:23], 0 offen lds               // 00000000CD90: E0511000 80050044
	s_add_u32 m0, 0x300, s50                                   // 00000000CD98: 807C32FF 00000300
	v_mfma_f32_16x16x32_fp8_fp8 v[96:99], a[146:147], a[90:91], v[96:99]// 00000000CDA0: D3F30060 1D82B592
	v_mfma_f32_16x16x32_fp8_fp8 v[96:99], a[148:149], a[92:93], v[96:99]// 00000000CDA8: D3F30060 1D82B994
	buffer_load_dword v69, s[20:23], 0 offen lds               // 00000000CDB0: E0511000 80050045
	s_add_u32 m0, 0x400, s50                                   // 00000000CDB8: 807C32FF 00000400
	v_mfma_f32_16x16x32_fp8_fp8 v[96:99], a[150:151], a[94:95], v[96:99]// 00000000CDC0: D3F30060 1D82BD96
	v_mfma_f32_16x16x32_fp8_fp8 v[132:135], a[152:153], a[88:89], v[132:135]// 00000000CDC8: D3F30084 1E12B198
	buffer_load_dword v70, s[20:23], 0 offen lds               // 00000000CDD0: E0511000 80050046
	s_add_u32 m0, 0x500, s50                                   // 00000000CDD8: 807C32FF 00000500
	v_mfma_f32_16x16x32_fp8_fp8 v[132:135], a[154:155], a[90:91], v[132:135]// 00000000CDE0: D3F30084 1E12B59A
	v_mfma_f32_16x16x32_fp8_fp8 v[132:135], a[156:157], a[92:93], v[132:135]// 00000000CDE8: D3F30084 1E12B99C
	buffer_load_dword v71, s[20:23], 0 offen lds               // 00000000CDF0: E0511000 80050047
	s_add_u32 m0, 0x600, s50                                   // 00000000CDF8: 807C32FF 00000600
	v_mfma_f32_16x16x32_fp8_fp8 v[132:135], a[158:159], a[94:95], v[132:135]// 00000000CE00: D3F30084 1E12BD9E
	v_mfma_f32_16x16x32_fp8_fp8 v[100:103], a[144:145], a[96:97], v[100:103]// 00000000CE08: D3F30064 1D92C190
	buffer_load_dword v72, s[20:23], 0 offen lds               // 00000000CE10: E0511000 80050048
	s_add_u32 m0, 0x700, s50                                   // 00000000CE18: 807C32FF 00000700
	v_mfma_f32_16x16x32_fp8_fp8 v[100:103], a[146:147], a[98:99], v[100:103]// 00000000CE20: D3F30064 1D92C592
	v_mfma_f32_16x16x32_fp8_fp8 v[100:103], a[148:149], a[100:101], v[100:103]// 00000000CE28: D3F30064 1D92C994
	buffer_load_dword v73, s[20:23], 0 offen lds               // 00000000CE30: E0511000 80050049
	s_add_u32 m0, 0x800, s50                                   // 00000000CE38: 807C32FF 00000800
	v_mfma_f32_16x16x32_fp8_fp8 v[100:103], a[150:151], a[102:103], v[100:103]// 00000000CE40: D3F30064 1D92CD96
	v_mfma_f32_16x16x32_fp8_fp8 v[136:139], a[152:153], a[96:97], v[136:139]// 00000000CE48: D3F30088 1E22C198
	buffer_load_dword v74, s[20:23], 0 offen lds               // 00000000CE50: E0511000 8005004A
	s_add_u32 m0, 0x900, s50                                   // 00000000CE58: 807C32FF 00000900
	v_mfma_f32_16x16x32_fp8_fp8 v[136:139], a[154:155], a[98:99], v[136:139]// 00000000CE60: D3F30088 1E22C59A
	v_mfma_f32_16x16x32_fp8_fp8 v[136:139], a[156:157], a[100:101], v[136:139]// 00000000CE68: D3F30088 1E22C99C
	buffer_load_dword v75, s[20:23], 0 offen lds               // 00000000CE70: E0511000 8005004B
	s_add_u32 m0, 0xa00, s50                                   // 00000000CE78: 807C32FF 00000A00
	v_mfma_f32_16x16x32_fp8_fp8 v[136:139], a[158:159], a[102:103], v[136:139]// 00000000CE80: D3F30088 1E22CD9E
	v_mfma_f32_16x16x32_fp8_fp8 v[104:107], a[144:145], a[104:105], v[104:107]// 00000000CE88: D3F30068 1DA2D190
	buffer_load_dword v76, s[20:23], 0 offen lds               // 00000000CE90: E0511000 8005004C
	s_add_u32 m0, 0xb00, s50                                   // 00000000CE98: 807C32FF 00000B00
	v_mfma_f32_16x16x32_fp8_fp8 v[104:107], a[146:147], a[106:107], v[104:107]// 00000000CEA0: D3F30068 1DA2D592
	v_mfma_f32_16x16x32_fp8_fp8 v[104:107], a[148:149], a[108:109], v[104:107]// 00000000CEA8: D3F30068 1DA2D994
	buffer_load_dword v77, s[20:23], 0 offen lds               // 00000000CEB0: E0511000 8005004D
	s_add_u32 m0, 0xc00, s50                                   // 00000000CEB8: 807C32FF 00000C00
	v_mfma_f32_16x16x32_fp8_fp8 v[104:107], a[150:151], a[110:111], v[104:107]// 00000000CEC0: D3F30068 1DA2DD96
	v_mfma_f32_16x16x32_fp8_fp8 v[140:143], a[152:153], a[104:105], v[140:143]// 00000000CEC8: D3F3008C 1E32D198
	buffer_load_dword v78, s[20:23], 0 offen lds               // 00000000CED0: E0511000 8005004E
	s_add_u32 m0, 0xd00, s50                                   // 00000000CED8: 807C32FF 00000D00
	v_mfma_f32_16x16x32_fp8_fp8 v[140:143], a[154:155], a[106:107], v[140:143]// 00000000CEE0: D3F3008C 1E32D59A
	v_mfma_f32_16x16x32_fp8_fp8 v[140:143], a[156:157], a[108:109], v[140:143]// 00000000CEE8: D3F3008C 1E32D99C
	buffer_load_dword v79, s[20:23], 0 offen lds               // 00000000CEF0: E0511000 8005004F
	s_add_u32 m0, 0xe00, s50                                   // 00000000CEF8: 807C32FF 00000E00
	v_mfma_f32_16x16x32_fp8_fp8 v[140:143], a[158:159], a[110:111], v[140:143]// 00000000CF00: D3F3008C 1E32DD9E
	v_mfma_f32_16x16x32_fp8_fp8 v[108:111], a[144:145], a[112:113], v[108:111]// 00000000CF08: D3F3006C 1DB2E190
	buffer_load_dword v80, s[20:23], 0 offen lds               // 00000000CF10: E0511000 80050050
	s_add_u32 m0, 0xf00, s50                                   // 00000000CF18: 807C32FF 00000F00
	v_mfma_f32_16x16x32_fp8_fp8 v[108:111], a[146:147], a[114:115], v[108:111]// 00000000CF20: D3F3006C 1DB2E592
	v_mfma_f32_16x16x32_fp8_fp8 v[108:111], a[148:149], a[116:117], v[108:111]// 00000000CF28: D3F3006C 1DB2E994
	buffer_load_dword v81, s[20:23], 0 offen lds               // 00000000CF30: E0511000 80050051
	s_add_u32 m0, 0x1000, s50                                  // 00000000CF38: 807C32FF 00001000
	v_mfma_f32_16x16x32_fp8_fp8 v[108:111], a[150:151], a[118:119], v[108:111]// 00000000CF40: D3F3006C 1DB2ED96
	v_mfma_f32_16x16x32_fp8_fp8 v[144:147], a[152:153], a[112:113], v[144:147]// 00000000CF48: D3F30090 1E42E198
	buffer_load_dword v82, s[20:23], 0 offen lds               // 00000000CF50: E0511000 80050052
	s_add_u32 m0, 0x1100, s50                                  // 00000000CF58: 807C32FF 00001100
	v_mfma_f32_16x16x32_fp8_fp8 v[144:147], a[154:155], a[114:115], v[144:147]// 00000000CF60: D3F30090 1E42E59A
	v_mfma_f32_16x16x32_fp8_fp8 v[144:147], a[156:157], a[116:117], v[144:147]// 00000000CF68: D3F30090 1E42E99C
	buffer_load_dword v83, s[20:23], 0 offen lds               // 00000000CF70: E0511000 80050053
	s_add_u32 m0, 0, s48                                       // 00000000CF78: 807C3080
	v_mfma_f32_16x16x32_fp8_fp8 v[144:147], a[158:159], a[118:119], v[144:147]// 00000000CF7C: D3F30090 1E42ED9E
	v_mfma_f32_16x16x32_fp8_fp8 v[112:115], a[144:145], a[120:121], v[112:115]// 00000000CF84: D3F30070 1DC2F190
	v_mfma_f32_16x16x32_fp8_fp8 v[112:115], a[146:147], a[122:123], v[112:115]// 00000000CF8C: D3F30070 1DC2F592
	v_mfma_f32_16x16x32_fp8_fp8 v[112:115], a[148:149], a[124:125], v[112:115]// 00000000CF94: D3F30070 1DC2F994
	v_mfma_f32_16x16x32_fp8_fp8 v[112:115], a[150:151], a[126:127], v[112:115]// 00000000CF9C: D3F30070 1DC2FD96
	v_mfma_f32_16x16x32_fp8_fp8 v[148:151], a[152:153], a[120:121], v[148:151]// 00000000CFA4: D3F30094 1E52F198
	v_mfma_f32_16x16x32_fp8_fp8 v[148:151], a[154:155], a[122:123], v[148:151]// 00000000CFAC: D3F30094 1E52F59A
	v_mfma_f32_16x16x32_fp8_fp8 v[148:151], a[156:157], a[124:125], v[148:151]// 00000000CFB4: D3F30094 1E52F99C
	v_mfma_f32_16x16x32_fp8_fp8 v[148:151], a[158:159], a[126:127], v[148:151]// 00000000CFBC: D3F30094 1E52FD9E
	v_mfma_f32_16x16x32_fp8_fp8 v[116:119], a[144:145], a[128:129], v[116:119]// 00000000CFC4: D3F30074 1DD30190
	v_mfma_f32_16x16x32_fp8_fp8 v[116:119], a[146:147], a[130:131], v[116:119]// 00000000CFCC: D3F30074 1DD30592
	v_mfma_f32_16x16x32_fp8_fp8 v[116:119], a[148:149], a[132:133], v[116:119]// 00000000CFD4: D3F30074 1DD30994
	v_mfma_f32_16x16x32_fp8_fp8 v[116:119], a[150:151], a[134:135], v[116:119]// 00000000CFDC: D3F30074 1DD30D96
	v_mfma_f32_16x16x32_fp8_fp8 v[152:155], a[152:153], a[128:129], v[152:155]// 00000000CFE4: D3F30098 1E630198
	v_mfma_f32_16x16x32_fp8_fp8 v[152:155], a[154:155], a[130:131], v[152:155]// 00000000CFEC: D3F30098 1E63059A
	v_mfma_f32_16x16x32_fp8_fp8 v[152:155], a[156:157], a[132:133], v[152:155]// 00000000CFF4: D3F30098 1E63099C
	v_mfma_f32_16x16x32_fp8_fp8 v[152:155], a[158:159], a[134:135], v[152:155]// 00000000CFFC: D3F30098 1E630D9E
	v_mfma_f32_16x16x32_fp8_fp8 v[120:123], a[144:145], a[136:137], v[120:123]// 00000000D004: D3F30078 1DE31190
	v_mfma_f32_16x16x32_fp8_fp8 v[120:123], a[146:147], a[138:139], v[120:123]// 00000000D00C: D3F30078 1DE31592
	v_mfma_f32_16x16x32_fp8_fp8 v[120:123], a[148:149], a[140:141], v[120:123]// 00000000D014: D3F30078 1DE31994
	v_mfma_f32_16x16x32_fp8_fp8 v[120:123], a[150:151], a[142:143], v[120:123]// 00000000D01C: D3F30078 1DE31D96
	v_mfma_f32_16x16x32_fp8_fp8 v[156:159], a[152:153], a[136:137], v[156:159]// 00000000D024: D3F3009C 1E731198
	v_mfma_f32_16x16x32_fp8_fp8 v[156:159], a[154:155], a[138:139], v[156:159]// 00000000D02C: D3F3009C 1E73159A
	v_mfma_f32_16x16x32_fp8_fp8 v[156:159], a[156:157], a[140:141], v[156:159]// 00000000D034: D3F3009C 1E73199C
	v_mfma_f32_16x16x32_fp8_fp8 v[156:159], a[158:159], a[142:143], v[156:159]// 00000000D03C: D3F3009C 1E731D9E
	s_waitcnt vmcnt(22)                                        // 00000000D044: BF8C4F76
	s_barrier                                                  // 00000000D048: BF8A0000
	v_mfma_f32_16x16x32_fp8_fp8 v[160:163], a[160:161], a[72:73], v[160:163]// 00000000D04C: D3F300A0 1E8291A0
	buffer_load_dwordx4 a[144:147], v84, s[84:87], 0 offen     // 00000000D054: E05C1000 80959054
	v_mfma_f32_16x16x32_fp8_fp8 v[160:163], a[162:163], a[74:75], v[160:163]// 00000000D05C: D3F300A0 1E8295A2
	v_mfma_f32_16x16x32_fp8_fp8 v[160:163], a[164:165], a[76:77], v[160:163]// 00000000D064: D3F300A0 1E8299A4
	ds_read_b128 a[0:3], v2 offset:18560                       // 00000000D06C: DBFE4880 00000002
	ds_read_b128 a[4:7], v2 offset:18624                       // 00000000D074: DBFE48C0 04000002
	v_mfma_f32_16x16x32_fp8_fp8 v[160:163], a[166:167], a[78:79], v[160:163]// 00000000D07C: D3F300A0 1E829DA6
	v_mfma_f32_16x16x32_fp8_fp8 v[196:199], a[168:169], a[72:73], v[196:199]// 00000000D084: D3F300C4 1F1291A8
	buffer_load_dwordx4 a[148:151], v84, s[84:87], 0 offen offset:1024// 00000000D08C: E05C1400 80959454
	v_mfma_f32_16x16x32_fp8_fp8 v[196:199], a[170:171], a[74:75], v[196:199]// 00000000D094: D3F300C4 1F1295AA
	v_mfma_f32_16x16x32_fp8_fp8 v[196:199], a[172:173], a[76:77], v[196:199]// 00000000D09C: D3F300C4 1F1299AC
	ds_read_b128 a[8:11], v2 offset:19072                      // 00000000D0A4: DBFE4A80 08000002
	ds_read_b128 a[12:15], v2 offset:19136                     // 00000000D0AC: DBFE4AC0 0C000002
	v_mfma_f32_16x16x32_fp8_fp8 v[196:199], a[174:175], a[78:79], v[196:199]// 00000000D0B4: D3F300C4 1F129DAE
	v_mfma_f32_16x16x32_fp8_fp8 v[164:167], a[160:161], a[80:81], v[164:167]// 00000000D0BC: D3F300A4 1E92A1A0
	buffer_load_dwordx4 a[152:155], v85, s[84:87], 0 offen     // 00000000D0C4: E05C1000 80959855
	v_mfma_f32_16x16x32_fp8_fp8 v[164:167], a[162:163], a[82:83], v[164:167]// 00000000D0CC: D3F300A4 1E92A5A2
	v_mfma_f32_16x16x32_fp8_fp8 v[164:167], a[164:165], a[84:85], v[164:167]// 00000000D0D4: D3F300A4 1E92A9A4
	ds_read_b128 a[16:19], v2 offset:19584                     // 00000000D0DC: DBFE4C80 10000002
	ds_read_b128 a[20:23], v2 offset:19648                     // 00000000D0E4: DBFE4CC0 14000002
	v_mfma_f32_16x16x32_fp8_fp8 v[164:167], a[166:167], a[86:87], v[164:167]// 00000000D0EC: D3F300A4 1E92ADA6
	v_mfma_f32_16x16x32_fp8_fp8 v[200:203], a[168:169], a[80:81], v[200:203]// 00000000D0F4: D3F300C8 1F22A1A8
	buffer_load_dwordx4 a[156:159], v85, s[84:87], 0 offen offset:1024// 00000000D0FC: E05C1400 80959C55
	v_mfma_f32_16x16x32_fp8_fp8 v[200:203], a[170:171], a[82:83], v[200:203]// 00000000D104: D3F300C8 1F22A5AA
	v_mfma_f32_16x16x32_fp8_fp8 v[200:203], a[172:173], a[84:85], v[200:203]// 00000000D10C: D3F300C8 1F22A9AC
	ds_read_b128 a[24:27], v2 offset:20096                     // 00000000D114: DBFE4E80 18000002
	ds_read_b128 a[28:31], v2 offset:20160                     // 00000000D11C: DBFE4EC0 1C000002
	v_mfma_f32_16x16x32_fp8_fp8 v[200:203], a[174:175], a[86:87], v[200:203]// 00000000D124: D3F300C8 1F22ADAE
	v_mfma_f32_16x16x32_fp8_fp8 v[168:171], a[160:161], a[88:89], v[168:171]// 00000000D12C: D3F300A8 1EA2B1A0
	v_mfma_f32_16x16x32_fp8_fp8 v[168:171], a[162:163], a[90:91], v[168:171]// 00000000D134: D3F300A8 1EA2B5A2
	v_mfma_f32_16x16x32_fp8_fp8 v[168:171], a[164:165], a[92:93], v[168:171]// 00000000D13C: D3F300A8 1EA2B9A4
	ds_read_b128 a[32:35], v2 offset:20608                     // 00000000D144: DBFE5080 20000002
	ds_read_b128 a[36:39], v2 offset:20672                     // 00000000D14C: DBFE50C0 24000002
	v_mfma_f32_16x16x32_fp8_fp8 v[168:171], a[166:167], a[94:95], v[168:171]// 00000000D154: D3F300A8 1EA2BDA6
	v_mfma_f32_16x16x32_fp8_fp8 v[204:207], a[168:169], a[88:89], v[204:207]// 00000000D15C: D3F300CC 1F32B1A8
	v_mfma_f32_16x16x32_fp8_fp8 v[204:207], a[170:171], a[90:91], v[204:207]// 00000000D164: D3F300CC 1F32B5AA
	v_mfma_f32_16x16x32_fp8_fp8 v[204:207], a[172:173], a[92:93], v[204:207]// 00000000D16C: D3F300CC 1F32B9AC
	ds_read_b128 a[40:43], v2 offset:21120                     // 00000000D174: DBFE5280 28000002
	ds_read_b128 a[44:47], v2 offset:21184                     // 00000000D17C: DBFE52C0 2C000002
	v_mfma_f32_16x16x32_fp8_fp8 v[204:207], a[174:175], a[94:95], v[204:207]// 00000000D184: D3F300CC 1F32BDAE
	v_mfma_f32_16x16x32_fp8_fp8 v[172:175], a[160:161], a[96:97], v[172:175]// 00000000D18C: D3F300AC 1EB2C1A0
	v_mfma_f32_16x16x32_fp8_fp8 v[172:175], a[162:163], a[98:99], v[172:175]// 00000000D194: D3F300AC 1EB2C5A2
	v_mfma_f32_16x16x32_fp8_fp8 v[172:175], a[164:165], a[100:101], v[172:175]// 00000000D19C: D3F300AC 1EB2C9A4
	ds_read_b128 a[48:51], v2 offset:21632                     // 00000000D1A4: DBFE5480 30000002
	ds_read_b128 a[52:55], v2 offset:21696                     // 00000000D1AC: DBFE54C0 34000002
	v_mfma_f32_16x16x32_fp8_fp8 v[172:175], a[166:167], a[102:103], v[172:175]// 00000000D1B4: D3F300AC 1EB2CDA6
	v_mfma_f32_16x16x32_fp8_fp8 v[208:211], a[168:169], a[96:97], v[208:211]// 00000000D1BC: D3F300D0 1F42C1A8
	v_mfma_f32_16x16x32_fp8_fp8 v[208:211], a[170:171], a[98:99], v[208:211]// 00000000D1C4: D3F300D0 1F42C5AA
	v_mfma_f32_16x16x32_fp8_fp8 v[208:211], a[172:173], a[100:101], v[208:211]// 00000000D1CC: D3F300D0 1F42C9AC
	ds_read_b128 a[56:59], v2 offset:22144                     // 00000000D1D4: DBFE5680 38000002
	ds_read_b128 a[60:63], v2 offset:22208                     // 00000000D1DC: DBFE56C0 3C000002
	v_mfma_f32_16x16x32_fp8_fp8 v[208:211], a[174:175], a[102:103], v[208:211]// 00000000D1E4: D3F300D0 1F42CDAE
	v_mfma_f32_16x16x32_fp8_fp8 v[176:179], a[160:161], a[104:105], v[176:179]// 00000000D1EC: D3F300B0 1EC2D1A0
	v_mfma_f32_16x16x32_fp8_fp8 v[176:179], a[162:163], a[106:107], v[176:179]// 00000000D1F4: D3F300B0 1EC2D5A2
	v_mfma_f32_16x16x32_fp8_fp8 v[176:179], a[164:165], a[108:109], v[176:179]// 00000000D1FC: D3F300B0 1EC2D9A4
	ds_read_b128 a[64:67], v2 offset:22656                     // 00000000D204: DBFE5880 40000002
	ds_read_b128 a[68:71], v2 offset:22720                     // 00000000D20C: DBFE58C0 44000002
	v_mfma_f32_16x16x32_fp8_fp8 v[176:179], a[166:167], a[110:111], v[176:179]// 00000000D214: D3F300B0 1EC2DDA6
	v_mfma_f32_16x16x32_fp8_fp8 v[212:215], a[168:169], a[104:105], v[212:215]// 00000000D21C: D3F300D4 1F52D1A8
	v_mfma_f32_16x16x32_fp8_fp8 v[212:215], a[170:171], a[106:107], v[212:215]// 00000000D224: D3F300D4 1F52D5AA
	v_mfma_f32_16x16x32_fp8_fp8 v[212:215], a[172:173], a[108:109], v[212:215]// 00000000D22C: D3F300D4 1F52D9AC
	v_mfma_f32_16x16x32_fp8_fp8 v[212:215], a[174:175], a[110:111], v[212:215]// 00000000D234: D3F300D4 1F52DDAE
	v_mfma_f32_16x16x32_fp8_fp8 v[180:183], a[160:161], a[112:113], v[180:183]// 00000000D23C: D3F300B4 1ED2E1A0
	v_mfma_f32_16x16x32_fp8_fp8 v[180:183], a[162:163], a[114:115], v[180:183]// 00000000D244: D3F300B4 1ED2E5A2
	v_mfma_f32_16x16x32_fp8_fp8 v[180:183], a[164:165], a[116:117], v[180:183]// 00000000D24C: D3F300B4 1ED2E9A4
	v_mfma_f32_16x16x32_fp8_fp8 v[180:183], a[166:167], a[118:119], v[180:183]// 00000000D254: D3F300B4 1ED2EDA6
	v_mfma_f32_16x16x32_fp8_fp8 v[216:219], a[168:169], a[112:113], v[216:219]// 00000000D25C: D3F300D8 1F62E1A8
	v_mfma_f32_16x16x32_fp8_fp8 v[216:219], a[170:171], a[114:115], v[216:219]// 00000000D264: D3F300D8 1F62E5AA
	v_mfma_f32_16x16x32_fp8_fp8 v[216:219], a[172:173], a[116:117], v[216:219]// 00000000D26C: D3F300D8 1F62E9AC
	v_mfma_f32_16x16x32_fp8_fp8 v[216:219], a[174:175], a[118:119], v[216:219]// 00000000D274: D3F300D8 1F62EDAE
	v_mfma_f32_16x16x32_fp8_fp8 v[184:187], a[160:161], a[120:121], v[184:187]// 00000000D27C: D3F300B8 1EE2F1A0
	v_mfma_f32_16x16x32_fp8_fp8 v[184:187], a[162:163], a[122:123], v[184:187]// 00000000D284: D3F300B8 1EE2F5A2
	v_mfma_f32_16x16x32_fp8_fp8 v[184:187], a[164:165], a[124:125], v[184:187]// 00000000D28C: D3F300B8 1EE2F9A4
	v_mfma_f32_16x16x32_fp8_fp8 v[184:187], a[166:167], a[126:127], v[184:187]// 00000000D294: D3F300B8 1EE2FDA6
	v_mfma_f32_16x16x32_fp8_fp8 v[220:223], a[168:169], a[120:121], v[220:223]// 00000000D29C: D3F300DC 1F72F1A8
	v_mfma_f32_16x16x32_fp8_fp8 v[220:223], a[170:171], a[122:123], v[220:223]// 00000000D2A4: D3F300DC 1F72F5AA
	v_mfma_f32_16x16x32_fp8_fp8 v[220:223], a[172:173], a[124:125], v[220:223]// 00000000D2AC: D3F300DC 1F72F9AC
	v_mfma_f32_16x16x32_fp8_fp8 v[220:223], a[174:175], a[126:127], v[220:223]// 00000000D2B4: D3F300DC 1F72FDAE
	v_mfma_f32_16x16x32_fp8_fp8 v[188:191], a[160:161], a[128:129], v[188:191]// 00000000D2BC: D3F300BC 1EF301A0
	v_mfma_f32_16x16x32_fp8_fp8 v[188:191], a[162:163], a[130:131], v[188:191]// 00000000D2C4: D3F300BC 1EF305A2
	v_mfma_f32_16x16x32_fp8_fp8 v[188:191], a[164:165], a[132:133], v[188:191]// 00000000D2CC: D3F300BC 1EF309A4
	v_mfma_f32_16x16x32_fp8_fp8 v[188:191], a[166:167], a[134:135], v[188:191]// 00000000D2D4: D3F300BC 1EF30DA6
	v_mfma_f32_16x16x32_fp8_fp8 v[224:227], a[168:169], a[128:129], v[224:227]// 00000000D2DC: D3F300E0 1F8301A8
	v_mfma_f32_16x16x32_fp8_fp8 v[224:227], a[170:171], a[130:131], v[224:227]// 00000000D2E4: D3F300E0 1F8305AA
	v_mfma_f32_16x16x32_fp8_fp8 v[224:227], a[172:173], a[132:133], v[224:227]// 00000000D2EC: D3F300E0 1F8309AC
	v_mfma_f32_16x16x32_fp8_fp8 v[224:227], a[174:175], a[134:135], v[224:227]// 00000000D2F4: D3F300E0 1F830DAE
	v_mfma_f32_16x16x32_fp8_fp8 v[192:195], a[160:161], a[136:137], v[192:195]// 00000000D2FC: D3F300C0 1F0311A0
	s_add_u32 s60, 0x180, s80                                  // 00000000D304: 803C50FF 00000180
	s_cmp_lt_u32 s60, s81                                      // 00000000D30C: BF0A513C
	s_cselect_b32 s57, s57, 0                                  // 00000000D310: 85398039
	v_mfma_f32_16x16x32_fp8_fp8 v[192:195], a[162:163], a[138:139], v[192:195]// 00000000D314: D3F300C0 1F0315A2
	s_add_u32 s60, 0x100, s80                                  // 00000000D31C: 803C50FF 00000100
	s_cmp_lt_u32 s60, s81                                      // 00000000D324: BF0A513C
	s_cselect_b32 s58, s58, 0                                  // 00000000D328: 853A803A
	v_mfma_f32_16x16x32_fp8_fp8 v[192:195], a[164:165], a[140:141], v[192:195]// 00000000D32C: D3F300C0 1F0319A4
	s_add_u32 s60, 0x100, s80                                  // 00000000D334: 803C50FF 00000100
	s_cmp_lt_u32 s60, s81                                      // 00000000D33C: BF0A513C
	s_cselect_b32 s83, s83, 0                                  // 00000000D340: 85538053
	v_mfma_f32_16x16x32_fp8_fp8 v[192:195], a[166:167], a[142:143], v[192:195]// 00000000D344: D3F300C0 1F031DA6
	s_add_u32 s24, s58, s24                                    // 00000000D34C: 8018183A
	s_addc_u32 s25, 0, s25                                     // 00000000D350: 82191980
	v_mfma_f32_16x16x32_fp8_fp8 v[228:231], a[168:169], a[136:137], v[228:231]// 00000000D354: D3F300E4 1F9311A8
	s_add_u32 s20, s57, s20                                    // 00000000D35C: 80141439
	s_addc_u32 s21, 0, s21                                     // 00000000D360: 82151580
	v_mfma_f32_16x16x32_fp8_fp8 v[228:231], a[170:171], a[138:139], v[228:231]// 00000000D364: D3F300E4 1F9315AA
	s_add_u32 s84, s83, s84                                    // 00000000D36C: 80545453
	s_addc_u32 s85, 0, s85                                     // 00000000D370: 82555580
	v_mfma_f32_16x16x32_fp8_fp8 v[228:231], a[172:173], a[140:141], v[228:231]// 00000000D374: D3F300E4 1F9319AC
	v_mfma_f32_16x16x32_fp8_fp8 v[228:231], a[174:175], a[142:143], v[228:231]// 00000000D37C: D3F300E4 1F931DAE
	s_addk_i32 s80, 0x80                                       // 00000000D384: B7500080
	s_cmp_lt_i32 s80, s81                                      // 00000000D388: BF045150
	s_cbranch_scc0 label_2DCE                                  // 00000000D38C: BF840367
	s_waitcnt vmcnt(22) lgkmcnt(0)                             // 00000000D390: BF8C4076
	v_mfma_f32_16x16x32_fp8_fp8 v[88:91], a[176:177], a[0:1], v[88:91]// 00000000D394: D3F30058 1D6201B0
	buffer_load_dwordx4 a[160:163], v84, s[24:27], 0 offen     // 00000000D39C: E05C1000 8086A054
	v_mfma_f32_16x16x32_fp8_fp8 v[88:91], a[178:179], a[2:3], v[88:91]// 00000000D3A4: D3F30058 1D6205B2
	v_mfma_f32_16x16x32_fp8_fp8 v[88:91], a[180:181], a[4:5], v[88:91]// 00000000D3AC: D3F30058 1D6209B4
	v_mfma_f32_16x16x32_fp8_fp8 v[88:91], a[182:183], a[6:7], v[88:91]// 00000000D3B4: D3F30058 1D620DB6
	v_mfma_f32_16x16x32_fp8_fp8 v[124:127], a[184:185], a[0:1], v[124:127]// 00000000D3BC: D3F3007C 1DF201B8
	buffer_load_dwordx4 a[164:167], v84, s[24:27], 0 offen offset:1024// 00000000D3C4: E05C1400 8086A454
	v_mfma_f32_16x16x32_fp8_fp8 v[124:127], a[186:187], a[2:3], v[124:127]// 00000000D3CC: D3F3007C 1DF205BA
	v_mfma_f32_16x16x32_fp8_fp8 v[124:127], a[188:189], a[4:5], v[124:127]// 00000000D3D4: D3F3007C 1DF209BC
	v_mfma_f32_16x16x32_fp8_fp8 v[124:127], a[190:191], a[6:7], v[124:127]// 00000000D3DC: D3F3007C 1DF20DBE
	v_mfma_f32_16x16x32_fp8_fp8 v[92:95], a[176:177], a[8:9], v[92:95]// 00000000D3E4: D3F3005C 1D7211B0
	buffer_load_dwordx4 a[168:171], v85, s[24:27], 0 offen     // 00000000D3EC: E05C1000 8086A855
	v_mfma_f32_16x16x32_fp8_fp8 v[92:95], a[178:179], a[10:11], v[92:95]// 00000000D3F4: D3F3005C 1D7215B2
	v_mfma_f32_16x16x32_fp8_fp8 v[92:95], a[180:181], a[12:13], v[92:95]// 00000000D3FC: D3F3005C 1D7219B4
	v_mfma_f32_16x16x32_fp8_fp8 v[92:95], a[182:183], a[14:15], v[92:95]// 00000000D404: D3F3005C 1D721DB6
	v_mfma_f32_16x16x32_fp8_fp8 v[128:131], a[184:185], a[8:9], v[128:131]// 00000000D40C: D3F30080 1E0211B8
	buffer_load_dwordx4 a[172:175], v85, s[24:27], 0 offen offset:1024// 00000000D414: E05C1400 8086AC55
	buffer_load_dword v66, s[20:23], 0 offen lds               // 00000000D41C: E0511000 80050042
	s_add_u32 m0, 0x100, s48                                   // 00000000D424: 807C30FF 00000100
	v_mfma_f32_16x16x32_fp8_fp8 v[128:131], a[186:187], a[10:11], v[128:131]// 00000000D42C: D3F30080 1E0215BA
	v_mfma_f32_16x16x32_fp8_fp8 v[128:131], a[188:189], a[12:13], v[128:131]// 00000000D434: D3F30080 1E0219BC
	buffer_load_dword v67, s[20:23], 0 offen lds               // 00000000D43C: E0511000 80050043
	s_add_u32 m0, 0x200, s48                                   // 00000000D444: 807C30FF 00000200
	v_mfma_f32_16x16x32_fp8_fp8 v[128:131], a[190:191], a[14:15], v[128:131]// 00000000D44C: D3F30080 1E021DBE
	v_mfma_f32_16x16x32_fp8_fp8 v[96:99], a[176:177], a[16:17], v[96:99]// 00000000D454: D3F30060 1D8221B0
	buffer_load_dword v68, s[20:23], 0 offen lds               // 00000000D45C: E0511000 80050044
	s_add_u32 m0, 0x300, s48                                   // 00000000D464: 807C30FF 00000300
	v_mfma_f32_16x16x32_fp8_fp8 v[96:99], a[178:179], a[18:19], v[96:99]// 00000000D46C: D3F30060 1D8225B2
	v_mfma_f32_16x16x32_fp8_fp8 v[96:99], a[180:181], a[20:21], v[96:99]// 00000000D474: D3F30060 1D8229B4
	buffer_load_dword v69, s[20:23], 0 offen lds               // 00000000D47C: E0511000 80050045
	s_add_u32 m0, 0x400, s48                                   // 00000000D484: 807C30FF 00000400
	v_mfma_f32_16x16x32_fp8_fp8 v[96:99], a[182:183], a[22:23], v[96:99]// 00000000D48C: D3F30060 1D822DB6
	v_mfma_f32_16x16x32_fp8_fp8 v[132:135], a[184:185], a[16:17], v[132:135]// 00000000D494: D3F30084 1E1221B8
	buffer_load_dword v70, s[20:23], 0 offen lds               // 00000000D49C: E0511000 80050046
	s_add_u32 m0, 0x500, s48                                   // 00000000D4A4: 807C30FF 00000500
	v_mfma_f32_16x16x32_fp8_fp8 v[132:135], a[186:187], a[18:19], v[132:135]// 00000000D4AC: D3F30084 1E1225BA
	v_mfma_f32_16x16x32_fp8_fp8 v[132:135], a[188:189], a[20:21], v[132:135]// 00000000D4B4: D3F30084 1E1229BC
	buffer_load_dword v71, s[20:23], 0 offen lds               // 00000000D4BC: E0511000 80050047
	s_add_u32 m0, 0x600, s48                                   // 00000000D4C4: 807C30FF 00000600
	v_mfma_f32_16x16x32_fp8_fp8 v[132:135], a[190:191], a[22:23], v[132:135]// 00000000D4CC: D3F30084 1E122DBE
	v_mfma_f32_16x16x32_fp8_fp8 v[100:103], a[176:177], a[24:25], v[100:103]// 00000000D4D4: D3F30064 1D9231B0
	buffer_load_dword v72, s[20:23], 0 offen lds               // 00000000D4DC: E0511000 80050048
	s_add_u32 m0, 0x700, s48                                   // 00000000D4E4: 807C30FF 00000700
	v_mfma_f32_16x16x32_fp8_fp8 v[100:103], a[178:179], a[26:27], v[100:103]// 00000000D4EC: D3F30064 1D9235B2
	v_mfma_f32_16x16x32_fp8_fp8 v[100:103], a[180:181], a[28:29], v[100:103]// 00000000D4F4: D3F30064 1D9239B4
	buffer_load_dword v73, s[20:23], 0 offen lds               // 00000000D4FC: E0511000 80050049
	s_add_u32 m0, 0x800, s48                                   // 00000000D504: 807C30FF 00000800
	v_mfma_f32_16x16x32_fp8_fp8 v[100:103], a[182:183], a[30:31], v[100:103]// 00000000D50C: D3F30064 1D923DB6
	v_mfma_f32_16x16x32_fp8_fp8 v[136:139], a[184:185], a[24:25], v[136:139]// 00000000D514: D3F30088 1E2231B8
	buffer_load_dword v74, s[20:23], 0 offen lds               // 00000000D51C: E0511000 8005004A
	s_add_u32 m0, 0x900, s48                                   // 00000000D524: 807C30FF 00000900
	v_mfma_f32_16x16x32_fp8_fp8 v[136:139], a[186:187], a[26:27], v[136:139]// 00000000D52C: D3F30088 1E2235BA
	v_mfma_f32_16x16x32_fp8_fp8 v[136:139], a[188:189], a[28:29], v[136:139]// 00000000D534: D3F30088 1E2239BC
	buffer_load_dword v75, s[20:23], 0 offen lds               // 00000000D53C: E0511000 8005004B
	s_add_u32 m0, 0xa00, s48                                   // 00000000D544: 807C30FF 00000A00
	v_mfma_f32_16x16x32_fp8_fp8 v[136:139], a[190:191], a[30:31], v[136:139]// 00000000D54C: D3F30088 1E223DBE
	v_mfma_f32_16x16x32_fp8_fp8 v[104:107], a[176:177], a[32:33], v[104:107]// 00000000D554: D3F30068 1DA241B0
	buffer_load_dword v76, s[20:23], 0 offen lds               // 00000000D55C: E0511000 8005004C
	s_add_u32 m0, 0xb00, s48                                   // 00000000D564: 807C30FF 00000B00
	v_mfma_f32_16x16x32_fp8_fp8 v[104:107], a[178:179], a[34:35], v[104:107]// 00000000D56C: D3F30068 1DA245B2
	v_mfma_f32_16x16x32_fp8_fp8 v[104:107], a[180:181], a[36:37], v[104:107]// 00000000D574: D3F30068 1DA249B4
	buffer_load_dword v77, s[20:23], 0 offen lds               // 00000000D57C: E0511000 8005004D
	s_add_u32 m0, 0xc00, s48                                   // 00000000D584: 807C30FF 00000C00
	v_mfma_f32_16x16x32_fp8_fp8 v[104:107], a[182:183], a[38:39], v[104:107]// 00000000D58C: D3F30068 1DA24DB6
	v_mfma_f32_16x16x32_fp8_fp8 v[140:143], a[184:185], a[32:33], v[140:143]// 00000000D594: D3F3008C 1E3241B8
	buffer_load_dword v78, s[20:23], 0 offen lds               // 00000000D59C: E0511000 8005004E
	s_add_u32 m0, 0xd00, s48                                   // 00000000D5A4: 807C30FF 00000D00
	v_mfma_f32_16x16x32_fp8_fp8 v[140:143], a[186:187], a[34:35], v[140:143]// 00000000D5AC: D3F3008C 1E3245BA
	v_mfma_f32_16x16x32_fp8_fp8 v[140:143], a[188:189], a[36:37], v[140:143]// 00000000D5B4: D3F3008C 1E3249BC
	buffer_load_dword v79, s[20:23], 0 offen lds               // 00000000D5BC: E0511000 8005004F
	s_add_u32 m0, 0xe00, s48                                   // 00000000D5C4: 807C30FF 00000E00
	v_mfma_f32_16x16x32_fp8_fp8 v[140:143], a[190:191], a[38:39], v[140:143]// 00000000D5CC: D3F3008C 1E324DBE
	v_mfma_f32_16x16x32_fp8_fp8 v[108:111], a[176:177], a[40:41], v[108:111]// 00000000D5D4: D3F3006C 1DB251B0
	buffer_load_dword v80, s[20:23], 0 offen lds               // 00000000D5DC: E0511000 80050050
	s_add_u32 m0, 0xf00, s48                                   // 00000000D5E4: 807C30FF 00000F00
	v_mfma_f32_16x16x32_fp8_fp8 v[108:111], a[178:179], a[42:43], v[108:111]// 00000000D5EC: D3F3006C 1DB255B2
	v_mfma_f32_16x16x32_fp8_fp8 v[108:111], a[180:181], a[44:45], v[108:111]// 00000000D5F4: D3F3006C 1DB259B4
	buffer_load_dword v81, s[20:23], 0 offen lds               // 00000000D5FC: E0511000 80050051
	s_add_u32 m0, 0x1000, s48                                  // 00000000D604: 807C30FF 00001000
	v_mfma_f32_16x16x32_fp8_fp8 v[108:111], a[182:183], a[46:47], v[108:111]// 00000000D60C: D3F3006C 1DB25DB6
	v_mfma_f32_16x16x32_fp8_fp8 v[144:147], a[184:185], a[40:41], v[144:147]// 00000000D614: D3F30090 1E4251B8
	buffer_load_dword v82, s[20:23], 0 offen lds               // 00000000D61C: E0511000 80050052
	s_add_u32 m0, 0x1100, s48                                  // 00000000D624: 807C30FF 00001100
	v_mfma_f32_16x16x32_fp8_fp8 v[144:147], a[186:187], a[42:43], v[144:147]// 00000000D62C: D3F30090 1E4255BA
	v_mfma_f32_16x16x32_fp8_fp8 v[144:147], a[188:189], a[44:45], v[144:147]// 00000000D634: D3F30090 1E4259BC
	buffer_load_dword v83, s[20:23], 0 offen lds               // 00000000D63C: E0511000 80050053
	s_add_u32 m0, 0, s49                                       // 00000000D644: 807C3180
	v_mfma_f32_16x16x32_fp8_fp8 v[144:147], a[190:191], a[46:47], v[144:147]// 00000000D648: D3F30090 1E425DBE
	v_mfma_f32_16x16x32_fp8_fp8 v[112:115], a[176:177], a[48:49], v[112:115]// 00000000D650: D3F30070 1DC261B0
	v_mfma_f32_16x16x32_fp8_fp8 v[112:115], a[178:179], a[50:51], v[112:115]// 00000000D658: D3F30070 1DC265B2
	v_mfma_f32_16x16x32_fp8_fp8 v[112:115], a[180:181], a[52:53], v[112:115]// 00000000D660: D3F30070 1DC269B4
	v_mfma_f32_16x16x32_fp8_fp8 v[112:115], a[182:183], a[54:55], v[112:115]// 00000000D668: D3F30070 1DC26DB6
	v_mfma_f32_16x16x32_fp8_fp8 v[148:151], a[184:185], a[48:49], v[148:151]// 00000000D670: D3F30094 1E5261B8
	v_mfma_f32_16x16x32_fp8_fp8 v[148:151], a[186:187], a[50:51], v[148:151]// 00000000D678: D3F30094 1E5265BA
	v_mfma_f32_16x16x32_fp8_fp8 v[148:151], a[188:189], a[52:53], v[148:151]// 00000000D680: D3F30094 1E5269BC
	v_mfma_f32_16x16x32_fp8_fp8 v[148:151], a[190:191], a[54:55], v[148:151]// 00000000D688: D3F30094 1E526DBE
	v_mfma_f32_16x16x32_fp8_fp8 v[116:119], a[176:177], a[56:57], v[116:119]// 00000000D690: D3F30074 1DD271B0
	v_mfma_f32_16x16x32_fp8_fp8 v[116:119], a[178:179], a[58:59], v[116:119]// 00000000D698: D3F30074 1DD275B2
	v_mfma_f32_16x16x32_fp8_fp8 v[116:119], a[180:181], a[60:61], v[116:119]// 00000000D6A0: D3F30074 1DD279B4
	v_mfma_f32_16x16x32_fp8_fp8 v[116:119], a[182:183], a[62:63], v[116:119]// 00000000D6A8: D3F30074 1DD27DB6
	v_mfma_f32_16x16x32_fp8_fp8 v[152:155], a[184:185], a[56:57], v[152:155]// 00000000D6B0: D3F30098 1E6271B8
	v_mfma_f32_16x16x32_fp8_fp8 v[152:155], a[186:187], a[58:59], v[152:155]// 00000000D6B8: D3F30098 1E6275BA
	v_mfma_f32_16x16x32_fp8_fp8 v[152:155], a[188:189], a[60:61], v[152:155]// 00000000D6C0: D3F30098 1E6279BC
	v_mfma_f32_16x16x32_fp8_fp8 v[152:155], a[190:191], a[62:63], v[152:155]// 00000000D6C8: D3F30098 1E627DBE
	v_mfma_f32_16x16x32_fp8_fp8 v[120:123], a[176:177], a[64:65], v[120:123]// 00000000D6D0: D3F30078 1DE281B0
	v_mfma_f32_16x16x32_fp8_fp8 v[120:123], a[178:179], a[66:67], v[120:123]// 00000000D6D8: D3F30078 1DE285B2
	v_mfma_f32_16x16x32_fp8_fp8 v[120:123], a[180:181], a[68:69], v[120:123]// 00000000D6E0: D3F30078 1DE289B4
	v_mfma_f32_16x16x32_fp8_fp8 v[120:123], a[182:183], a[70:71], v[120:123]// 00000000D6E8: D3F30078 1DE28DB6
	v_mfma_f32_16x16x32_fp8_fp8 v[156:159], a[184:185], a[64:65], v[156:159]// 00000000D6F0: D3F3009C 1E7281B8
	v_mfma_f32_16x16x32_fp8_fp8 v[156:159], a[186:187], a[66:67], v[156:159]// 00000000D6F8: D3F3009C 1E7285BA
	v_mfma_f32_16x16x32_fp8_fp8 v[156:159], a[188:189], a[68:69], v[156:159]// 00000000D700: D3F3009C 1E7289BC
	v_mfma_f32_16x16x32_fp8_fp8 v[156:159], a[190:191], a[70:71], v[156:159]// 00000000D708: D3F3009C 1E728DBE
	s_waitcnt vmcnt(22)                                        // 00000000D710: BF8C4F76
	s_barrier                                                  // 00000000D714: BF8A0000
	v_mfma_f32_16x16x32_fp8_fp8 v[160:163], a[144:145], a[0:1], v[160:163]// 00000000D718: D3F300A0 1E820190
	buffer_load_dwordx4 a[176:179], v84, s[84:87], 0 offen     // 00000000D720: E05C1000 8095B054
	v_mfma_f32_16x16x32_fp8_fp8 v[160:163], a[146:147], a[2:3], v[160:163]// 00000000D728: D3F300A0 1E820592
	v_mfma_f32_16x16x32_fp8_fp8 v[160:163], a[148:149], a[4:5], v[160:163]// 00000000D730: D3F300A0 1E820994
	ds_read_b128 a[72:75], v2 offset:37120                     // 00000000D738: DBFE9100 48000002
	ds_read_b128 a[76:79], v2 offset:37184                     // 00000000D740: DBFE9140 4C000002
	v_mfma_f32_16x16x32_fp8_fp8 v[160:163], a[150:151], a[6:7], v[160:163]// 00000000D748: D3F300A0 1E820D96
	v_mfma_f32_16x16x32_fp8_fp8 v[196:199], a[152:153], a[0:1], v[196:199]// 00000000D750: D3F300C4 1F120198
	buffer_load_dwordx4 a[180:183], v84, s[84:87], 0 offen offset:1024// 00000000D758: E05C1400 8095B454
	v_mfma_f32_16x16x32_fp8_fp8 v[196:199], a[154:155], a[2:3], v[196:199]// 00000000D760: D3F300C4 1F12059A
	v_mfma_f32_16x16x32_fp8_fp8 v[196:199], a[156:157], a[4:5], v[196:199]// 00000000D768: D3F300C4 1F12099C
	ds_read_b128 a[80:83], v2 offset:37632                     // 00000000D770: DBFE9300 50000002
	ds_read_b128 a[84:87], v2 offset:37696                     // 00000000D778: DBFE9340 54000002
	v_mfma_f32_16x16x32_fp8_fp8 v[196:199], a[158:159], a[6:7], v[196:199]// 00000000D780: D3F300C4 1F120D9E
	v_mfma_f32_16x16x32_fp8_fp8 v[164:167], a[144:145], a[8:9], v[164:167]// 00000000D788: D3F300A4 1E921190
	buffer_load_dwordx4 a[184:187], v85, s[84:87], 0 offen     // 00000000D790: E05C1000 8095B855
	v_mfma_f32_16x16x32_fp8_fp8 v[164:167], a[146:147], a[10:11], v[164:167]// 00000000D798: D3F300A4 1E921592
	v_mfma_f32_16x16x32_fp8_fp8 v[164:167], a[148:149], a[12:13], v[164:167]// 00000000D7A0: D3F300A4 1E921994
	ds_read_b128 a[88:91], v2 offset:38144                     // 00000000D7A8: DBFE9500 58000002
	ds_read_b128 a[92:95], v2 offset:38208                     // 00000000D7B0: DBFE9540 5C000002
	v_mfma_f32_16x16x32_fp8_fp8 v[164:167], a[150:151], a[14:15], v[164:167]// 00000000D7B8: D3F300A4 1E921D96
	v_mfma_f32_16x16x32_fp8_fp8 v[200:203], a[152:153], a[8:9], v[200:203]// 00000000D7C0: D3F300C8 1F221198
	buffer_load_dwordx4 a[188:191], v85, s[84:87], 0 offen offset:1024// 00000000D7C8: E05C1400 8095BC55
	v_mfma_f32_16x16x32_fp8_fp8 v[200:203], a[154:155], a[10:11], v[200:203]// 00000000D7D0: D3F300C8 1F22159A
	v_mfma_f32_16x16x32_fp8_fp8 v[200:203], a[156:157], a[12:13], v[200:203]// 00000000D7D8: D3F300C8 1F22199C
	ds_read_b128 a[96:99], v2 offset:38656                     // 00000000D7E0: DBFE9700 60000002
	ds_read_b128 a[100:103], v2 offset:38720                   // 00000000D7E8: DBFE9740 64000002
	v_mfma_f32_16x16x32_fp8_fp8 v[200:203], a[158:159], a[14:15], v[200:203]// 00000000D7F0: D3F300C8 1F221D9E
	v_mfma_f32_16x16x32_fp8_fp8 v[168:171], a[144:145], a[16:17], v[168:171]// 00000000D7F8: D3F300A8 1EA22190
	v_mfma_f32_16x16x32_fp8_fp8 v[168:171], a[146:147], a[18:19], v[168:171]// 00000000D800: D3F300A8 1EA22592
	v_mfma_f32_16x16x32_fp8_fp8 v[168:171], a[148:149], a[20:21], v[168:171]// 00000000D808: D3F300A8 1EA22994
	ds_read_b128 a[104:107], v2 offset:39168                   // 00000000D810: DBFE9900 68000002
	ds_read_b128 a[108:111], v2 offset:39232                   // 00000000D818: DBFE9940 6C000002
	v_mfma_f32_16x16x32_fp8_fp8 v[168:171], a[150:151], a[22:23], v[168:171]// 00000000D820: D3F300A8 1EA22D96
	v_mfma_f32_16x16x32_fp8_fp8 v[204:207], a[152:153], a[16:17], v[204:207]// 00000000D828: D3F300CC 1F322198
	v_mfma_f32_16x16x32_fp8_fp8 v[204:207], a[154:155], a[18:19], v[204:207]// 00000000D830: D3F300CC 1F32259A
	v_mfma_f32_16x16x32_fp8_fp8 v[204:207], a[156:157], a[20:21], v[204:207]// 00000000D838: D3F300CC 1F32299C
	ds_read_b128 a[112:115], v2 offset:39680                   // 00000000D840: DBFE9B00 70000002
	ds_read_b128 a[116:119], v2 offset:39744                   // 00000000D848: DBFE9B40 74000002
	v_mfma_f32_16x16x32_fp8_fp8 v[204:207], a[158:159], a[22:23], v[204:207]// 00000000D850: D3F300CC 1F322D9E
	v_mfma_f32_16x16x32_fp8_fp8 v[172:175], a[144:145], a[24:25], v[172:175]// 00000000D858: D3F300AC 1EB23190
	v_mfma_f32_16x16x32_fp8_fp8 v[172:175], a[146:147], a[26:27], v[172:175]// 00000000D860: D3F300AC 1EB23592
	v_mfma_f32_16x16x32_fp8_fp8 v[172:175], a[148:149], a[28:29], v[172:175]// 00000000D868: D3F300AC 1EB23994
	ds_read_b128 a[120:123], v2 offset:40192                   // 00000000D870: DBFE9D00 78000002
	ds_read_b128 a[124:127], v2 offset:40256                   // 00000000D878: DBFE9D40 7C000002
	v_mfma_f32_16x16x32_fp8_fp8 v[172:175], a[150:151], a[30:31], v[172:175]// 00000000D880: D3F300AC 1EB23D96
	v_mfma_f32_16x16x32_fp8_fp8 v[208:211], a[152:153], a[24:25], v[208:211]// 00000000D888: D3F300D0 1F423198
	v_mfma_f32_16x16x32_fp8_fp8 v[208:211], a[154:155], a[26:27], v[208:211]// 00000000D890: D3F300D0 1F42359A
	v_mfma_f32_16x16x32_fp8_fp8 v[208:211], a[156:157], a[28:29], v[208:211]// 00000000D898: D3F300D0 1F42399C
	ds_read_b128 a[128:131], v2 offset:40704                   // 00000000D8A0: DBFE9F00 80000002
	ds_read_b128 a[132:135], v2 offset:40768                   // 00000000D8A8: DBFE9F40 84000002
	v_mfma_f32_16x16x32_fp8_fp8 v[208:211], a[158:159], a[30:31], v[208:211]// 00000000D8B0: D3F300D0 1F423D9E
	v_mfma_f32_16x16x32_fp8_fp8 v[176:179], a[144:145], a[32:33], v[176:179]// 00000000D8B8: D3F300B0 1EC24190
	v_mfma_f32_16x16x32_fp8_fp8 v[176:179], a[146:147], a[34:35], v[176:179]// 00000000D8C0: D3F300B0 1EC24592
	v_mfma_f32_16x16x32_fp8_fp8 v[176:179], a[148:149], a[36:37], v[176:179]// 00000000D8C8: D3F300B0 1EC24994
	ds_read_b128 a[136:139], v2 offset:41216                   // 00000000D8D0: DBFEA100 88000002
	ds_read_b128 a[140:143], v2 offset:41280                   // 00000000D8D8: DBFEA140 8C000002
	v_mfma_f32_16x16x32_fp8_fp8 v[176:179], a[150:151], a[38:39], v[176:179]// 00000000D8E0: D3F300B0 1EC24D96
	v_mfma_f32_16x16x32_fp8_fp8 v[212:215], a[152:153], a[32:33], v[212:215]// 00000000D8E8: D3F300D4 1F524198
	v_mfma_f32_16x16x32_fp8_fp8 v[212:215], a[154:155], a[34:35], v[212:215]// 00000000D8F0: D3F300D4 1F52459A
	v_mfma_f32_16x16x32_fp8_fp8 v[212:215], a[156:157], a[36:37], v[212:215]// 00000000D8F8: D3F300D4 1F52499C
	v_mfma_f32_16x16x32_fp8_fp8 v[212:215], a[158:159], a[38:39], v[212:215]// 00000000D900: D3F300D4 1F524D9E
	v_mfma_f32_16x16x32_fp8_fp8 v[180:183], a[144:145], a[40:41], v[180:183]// 00000000D908: D3F300B4 1ED25190
	v_mfma_f32_16x16x32_fp8_fp8 v[180:183], a[146:147], a[42:43], v[180:183]// 00000000D910: D3F300B4 1ED25592
	v_mfma_f32_16x16x32_fp8_fp8 v[180:183], a[148:149], a[44:45], v[180:183]// 00000000D918: D3F300B4 1ED25994
	v_mfma_f32_16x16x32_fp8_fp8 v[180:183], a[150:151], a[46:47], v[180:183]// 00000000D920: D3F300B4 1ED25D96
	v_mfma_f32_16x16x32_fp8_fp8 v[216:219], a[152:153], a[40:41], v[216:219]// 00000000D928: D3F300D8 1F625198
	v_mfma_f32_16x16x32_fp8_fp8 v[216:219], a[154:155], a[42:43], v[216:219]// 00000000D930: D3F300D8 1F62559A
	v_mfma_f32_16x16x32_fp8_fp8 v[216:219], a[156:157], a[44:45], v[216:219]// 00000000D938: D3F300D8 1F62599C
	v_mfma_f32_16x16x32_fp8_fp8 v[216:219], a[158:159], a[46:47], v[216:219]// 00000000D940: D3F300D8 1F625D9E
	v_mfma_f32_16x16x32_fp8_fp8 v[184:187], a[144:145], a[48:49], v[184:187]// 00000000D948: D3F300B8 1EE26190
	v_mfma_f32_16x16x32_fp8_fp8 v[184:187], a[146:147], a[50:51], v[184:187]// 00000000D950: D3F300B8 1EE26592
	v_mfma_f32_16x16x32_fp8_fp8 v[184:187], a[148:149], a[52:53], v[184:187]// 00000000D958: D3F300B8 1EE26994
	v_mfma_f32_16x16x32_fp8_fp8 v[184:187], a[150:151], a[54:55], v[184:187]// 00000000D960: D3F300B8 1EE26D96
	v_mfma_f32_16x16x32_fp8_fp8 v[220:223], a[152:153], a[48:49], v[220:223]// 00000000D968: D3F300DC 1F726198
	v_mfma_f32_16x16x32_fp8_fp8 v[220:223], a[154:155], a[50:51], v[220:223]// 00000000D970: D3F300DC 1F72659A
	v_mfma_f32_16x16x32_fp8_fp8 v[220:223], a[156:157], a[52:53], v[220:223]// 00000000D978: D3F300DC 1F72699C
	v_mfma_f32_16x16x32_fp8_fp8 v[220:223], a[158:159], a[54:55], v[220:223]// 00000000D980: D3F300DC 1F726D9E
	v_mfma_f32_16x16x32_fp8_fp8 v[188:191], a[144:145], a[56:57], v[188:191]// 00000000D988: D3F300BC 1EF27190
	v_mfma_f32_16x16x32_fp8_fp8 v[188:191], a[146:147], a[58:59], v[188:191]// 00000000D990: D3F300BC 1EF27592
	v_mfma_f32_16x16x32_fp8_fp8 v[188:191], a[148:149], a[60:61], v[188:191]// 00000000D998: D3F300BC 1EF27994
	v_mfma_f32_16x16x32_fp8_fp8 v[188:191], a[150:151], a[62:63], v[188:191]// 00000000D9A0: D3F300BC 1EF27D96
	v_mfma_f32_16x16x32_fp8_fp8 v[224:227], a[152:153], a[56:57], v[224:227]// 00000000D9A8: D3F300E0 1F827198
	v_mfma_f32_16x16x32_fp8_fp8 v[224:227], a[154:155], a[58:59], v[224:227]// 00000000D9B0: D3F300E0 1F82759A
	v_mfma_f32_16x16x32_fp8_fp8 v[224:227], a[156:157], a[60:61], v[224:227]// 00000000D9B8: D3F300E0 1F82799C
	v_mfma_f32_16x16x32_fp8_fp8 v[224:227], a[158:159], a[62:63], v[224:227]// 00000000D9C0: D3F300E0 1F827D9E
	v_mfma_f32_16x16x32_fp8_fp8 v[192:195], a[144:145], a[64:65], v[192:195]// 00000000D9C8: D3F300C0 1F028190
	s_add_u32 s60, 0x180, s80                                  // 00000000D9D0: 803C50FF 00000180
	s_cmp_lt_u32 s60, s81                                      // 00000000D9D8: BF0A513C
	s_cselect_b32 s57, s57, 0                                  // 00000000D9DC: 85398039
	v_mfma_f32_16x16x32_fp8_fp8 v[192:195], a[146:147], a[66:67], v[192:195]// 00000000D9E0: D3F300C0 1F028592
	s_add_u32 s60, 0x100, s80                                  // 00000000D9E8: 803C50FF 00000100
	s_cmp_lt_u32 s60, s81                                      // 00000000D9F0: BF0A513C
	s_cselect_b32 s58, s58, 0                                  // 00000000D9F4: 853A803A
	v_mfma_f32_16x16x32_fp8_fp8 v[192:195], a[148:149], a[68:69], v[192:195]// 00000000D9F8: D3F300C0 1F028994
	s_add_u32 s60, 0x100, s80                                  // 00000000DA00: 803C50FF 00000100
	s_cmp_lt_u32 s60, s81                                      // 00000000DA08: BF0A513C
	s_cselect_b32 s83, s83, 0                                  // 00000000DA0C: 85538053
	v_mfma_f32_16x16x32_fp8_fp8 v[192:195], a[150:151], a[70:71], v[192:195]// 00000000DA10: D3F300C0 1F028D96
	s_add_u32 s24, s58, s24                                    // 00000000DA18: 8018183A
	s_addc_u32 s25, 0, s25                                     // 00000000DA1C: 82191980
	v_mfma_f32_16x16x32_fp8_fp8 v[228:231], a[152:153], a[64:65], v[228:231]// 00000000DA20: D3F300E4 1F928198
	s_add_u32 s20, s57, s20                                    // 00000000DA28: 80141439
	s_addc_u32 s21, 0, s21                                     // 00000000DA2C: 82151580
	v_mfma_f32_16x16x32_fp8_fp8 v[228:231], a[154:155], a[66:67], v[228:231]// 00000000DA30: D3F300E4 1F92859A
	s_add_u32 s84, s83, s84                                    // 00000000DA38: 80545453
	s_addc_u32 s85, 0, s85                                     // 00000000DA3C: 82555580
	v_mfma_f32_16x16x32_fp8_fp8 v[228:231], a[156:157], a[68:69], v[228:231]// 00000000DA40: D3F300E4 1F92899C
	v_mfma_f32_16x16x32_fp8_fp8 v[228:231], a[158:159], a[70:71], v[228:231]// 00000000DA48: D3F300E4 1F928D9E
	s_addk_i32 s80, 0x80                                       // 00000000DA50: B7500080
	s_cmp_lt_i32 s80, s81                                      // 00000000DA54: BF045150
	s_cbranch_scc0 label_2DCE                                  // 00000000DA58: BF8401B4
	s_waitcnt vmcnt(22) lgkmcnt(0)                             // 00000000DA5C: BF8C4076
	v_mfma_f32_16x16x32_fp8_fp8 v[88:91], a[160:161], a[72:73], v[88:91]// 00000000DA60: D3F30058 1D6291A0
	buffer_load_dwordx4 a[144:147], v84, s[24:27], 0 offen     // 00000000DA68: E05C1000 80869054
	v_mfma_f32_16x16x32_fp8_fp8 v[88:91], a[162:163], a[74:75], v[88:91]// 00000000DA70: D3F30058 1D6295A2
	v_mfma_f32_16x16x32_fp8_fp8 v[88:91], a[164:165], a[76:77], v[88:91]// 00000000DA78: D3F30058 1D6299A4
	v_mfma_f32_16x16x32_fp8_fp8 v[88:91], a[166:167], a[78:79], v[88:91]// 00000000DA80: D3F30058 1D629DA6
	v_mfma_f32_16x16x32_fp8_fp8 v[124:127], a[168:169], a[72:73], v[124:127]// 00000000DA88: D3F3007C 1DF291A8
	buffer_load_dwordx4 a[148:151], v84, s[24:27], 0 offen offset:1024// 00000000DA90: E05C1400 80869454
	v_mfma_f32_16x16x32_fp8_fp8 v[124:127], a[170:171], a[74:75], v[124:127]// 00000000DA98: D3F3007C 1DF295AA
	v_mfma_f32_16x16x32_fp8_fp8 v[124:127], a[172:173], a[76:77], v[124:127]// 00000000DAA0: D3F3007C 1DF299AC
	v_mfma_f32_16x16x32_fp8_fp8 v[124:127], a[174:175], a[78:79], v[124:127]// 00000000DAA8: D3F3007C 1DF29DAE
	v_mfma_f32_16x16x32_fp8_fp8 v[92:95], a[160:161], a[80:81], v[92:95]// 00000000DAB0: D3F3005C 1D72A1A0
	buffer_load_dwordx4 a[152:155], v85, s[24:27], 0 offen     // 00000000DAB8: E05C1000 80869855
	v_mfma_f32_16x16x32_fp8_fp8 v[92:95], a[162:163], a[82:83], v[92:95]// 00000000DAC0: D3F3005C 1D72A5A2
	v_mfma_f32_16x16x32_fp8_fp8 v[92:95], a[164:165], a[84:85], v[92:95]// 00000000DAC8: D3F3005C 1D72A9A4
	v_mfma_f32_16x16x32_fp8_fp8 v[92:95], a[166:167], a[86:87], v[92:95]// 00000000DAD0: D3F3005C 1D72ADA6
	v_mfma_f32_16x16x32_fp8_fp8 v[128:131], a[168:169], a[80:81], v[128:131]// 00000000DAD8: D3F30080 1E02A1A8
	buffer_load_dwordx4 a[156:159], v85, s[24:27], 0 offen offset:1024// 00000000DAE0: E05C1400 80869C55
	buffer_load_dword v66, s[20:23], 0 offen lds               // 00000000DAE8: E0511000 80050042
	s_add_u32 m0, 0x100, s49                                   // 00000000DAF0: 807C31FF 00000100
	v_mfma_f32_16x16x32_fp8_fp8 v[128:131], a[170:171], a[82:83], v[128:131]// 00000000DAF8: D3F30080 1E02A5AA
	v_mfma_f32_16x16x32_fp8_fp8 v[128:131], a[172:173], a[84:85], v[128:131]// 00000000DB00: D3F30080 1E02A9AC
	buffer_load_dword v67, s[20:23], 0 offen lds               // 00000000DB08: E0511000 80050043
	s_add_u32 m0, 0x200, s49                                   // 00000000DB10: 807C31FF 00000200
	v_mfma_f32_16x16x32_fp8_fp8 v[128:131], a[174:175], a[86:87], v[128:131]// 00000000DB18: D3F30080 1E02ADAE
	v_mfma_f32_16x16x32_fp8_fp8 v[96:99], a[160:161], a[88:89], v[96:99]// 00000000DB20: D3F30060 1D82B1A0
	buffer_load_dword v68, s[20:23], 0 offen lds               // 00000000DB28: E0511000 80050044
	s_add_u32 m0, 0x300, s49                                   // 00000000DB30: 807C31FF 00000300
	v_mfma_f32_16x16x32_fp8_fp8 v[96:99], a[162:163], a[90:91], v[96:99]// 00000000DB38: D3F30060 1D82B5A2
	v_mfma_f32_16x16x32_fp8_fp8 v[96:99], a[164:165], a[92:93], v[96:99]// 00000000DB40: D3F30060 1D82B9A4
	buffer_load_dword v69, s[20:23], 0 offen lds               // 00000000DB48: E0511000 80050045
	s_add_u32 m0, 0x400, s49                                   // 00000000DB50: 807C31FF 00000400
	v_mfma_f32_16x16x32_fp8_fp8 v[96:99], a[166:167], a[94:95], v[96:99]// 00000000DB58: D3F30060 1D82BDA6
	v_mfma_f32_16x16x32_fp8_fp8 v[132:135], a[168:169], a[88:89], v[132:135]// 00000000DB60: D3F30084 1E12B1A8
	buffer_load_dword v70, s[20:23], 0 offen lds               // 00000000DB68: E0511000 80050046
	s_add_u32 m0, 0x500, s49                                   // 00000000DB70: 807C31FF 00000500
	v_mfma_f32_16x16x32_fp8_fp8 v[132:135], a[170:171], a[90:91], v[132:135]// 00000000DB78: D3F30084 1E12B5AA
	v_mfma_f32_16x16x32_fp8_fp8 v[132:135], a[172:173], a[92:93], v[132:135]// 00000000DB80: D3F30084 1E12B9AC
	buffer_load_dword v71, s[20:23], 0 offen lds               // 00000000DB88: E0511000 80050047
	s_add_u32 m0, 0x600, s49                                   // 00000000DB90: 807C31FF 00000600
	v_mfma_f32_16x16x32_fp8_fp8 v[132:135], a[174:175], a[94:95], v[132:135]// 00000000DB98: D3F30084 1E12BDAE
	v_mfma_f32_16x16x32_fp8_fp8 v[100:103], a[160:161], a[96:97], v[100:103]// 00000000DBA0: D3F30064 1D92C1A0
	buffer_load_dword v72, s[20:23], 0 offen lds               // 00000000DBA8: E0511000 80050048
	s_add_u32 m0, 0x700, s49                                   // 00000000DBB0: 807C31FF 00000700
	v_mfma_f32_16x16x32_fp8_fp8 v[100:103], a[162:163], a[98:99], v[100:103]// 00000000DBB8: D3F30064 1D92C5A2
	v_mfma_f32_16x16x32_fp8_fp8 v[100:103], a[164:165], a[100:101], v[100:103]// 00000000DBC0: D3F30064 1D92C9A4
	buffer_load_dword v73, s[20:23], 0 offen lds               // 00000000DBC8: E0511000 80050049
	s_add_u32 m0, 0x800, s49                                   // 00000000DBD0: 807C31FF 00000800
	v_mfma_f32_16x16x32_fp8_fp8 v[100:103], a[166:167], a[102:103], v[100:103]// 00000000DBD8: D3F30064 1D92CDA6
	v_mfma_f32_16x16x32_fp8_fp8 v[136:139], a[168:169], a[96:97], v[136:139]// 00000000DBE0: D3F30088 1E22C1A8
	buffer_load_dword v74, s[20:23], 0 offen lds               // 00000000DBE8: E0511000 8005004A
	s_add_u32 m0, 0x900, s49                                   // 00000000DBF0: 807C31FF 00000900
	v_mfma_f32_16x16x32_fp8_fp8 v[136:139], a[170:171], a[98:99], v[136:139]// 00000000DBF8: D3F30088 1E22C5AA
	v_mfma_f32_16x16x32_fp8_fp8 v[136:139], a[172:173], a[100:101], v[136:139]// 00000000DC00: D3F30088 1E22C9AC
	buffer_load_dword v75, s[20:23], 0 offen lds               // 00000000DC08: E0511000 8005004B
	s_add_u32 m0, 0xa00, s49                                   // 00000000DC10: 807C31FF 00000A00
	v_mfma_f32_16x16x32_fp8_fp8 v[136:139], a[174:175], a[102:103], v[136:139]// 00000000DC18: D3F30088 1E22CDAE
	v_mfma_f32_16x16x32_fp8_fp8 v[104:107], a[160:161], a[104:105], v[104:107]// 00000000DC20: D3F30068 1DA2D1A0
	buffer_load_dword v76, s[20:23], 0 offen lds               // 00000000DC28: E0511000 8005004C
	s_add_u32 m0, 0xb00, s49                                   // 00000000DC30: 807C31FF 00000B00
	v_mfma_f32_16x16x32_fp8_fp8 v[104:107], a[162:163], a[106:107], v[104:107]// 00000000DC38: D3F30068 1DA2D5A2
	v_mfma_f32_16x16x32_fp8_fp8 v[104:107], a[164:165], a[108:109], v[104:107]// 00000000DC40: D3F30068 1DA2D9A4
	buffer_load_dword v77, s[20:23], 0 offen lds               // 00000000DC48: E0511000 8005004D
	s_add_u32 m0, 0xc00, s49                                   // 00000000DC50: 807C31FF 00000C00
	v_mfma_f32_16x16x32_fp8_fp8 v[104:107], a[166:167], a[110:111], v[104:107]// 00000000DC58: D3F30068 1DA2DDA6
	v_mfma_f32_16x16x32_fp8_fp8 v[140:143], a[168:169], a[104:105], v[140:143]// 00000000DC60: D3F3008C 1E32D1A8
	buffer_load_dword v78, s[20:23], 0 offen lds               // 00000000DC68: E0511000 8005004E
	s_add_u32 m0, 0xd00, s49                                   // 00000000DC70: 807C31FF 00000D00
	v_mfma_f32_16x16x32_fp8_fp8 v[140:143], a[170:171], a[106:107], v[140:143]// 00000000DC78: D3F3008C 1E32D5AA
	v_mfma_f32_16x16x32_fp8_fp8 v[140:143], a[172:173], a[108:109], v[140:143]// 00000000DC80: D3F3008C 1E32D9AC
	buffer_load_dword v79, s[20:23], 0 offen lds               // 00000000DC88: E0511000 8005004F
	s_add_u32 m0, 0xe00, s49                                   // 00000000DC90: 807C31FF 00000E00
	v_mfma_f32_16x16x32_fp8_fp8 v[140:143], a[174:175], a[110:111], v[140:143]// 00000000DC98: D3F3008C 1E32DDAE
	v_mfma_f32_16x16x32_fp8_fp8 v[108:111], a[160:161], a[112:113], v[108:111]// 00000000DCA0: D3F3006C 1DB2E1A0
	buffer_load_dword v80, s[20:23], 0 offen lds               // 00000000DCA8: E0511000 80050050
	s_add_u32 m0, 0xf00, s49                                   // 00000000DCB0: 807C31FF 00000F00
	v_mfma_f32_16x16x32_fp8_fp8 v[108:111], a[162:163], a[114:115], v[108:111]// 00000000DCB8: D3F3006C 1DB2E5A2
	v_mfma_f32_16x16x32_fp8_fp8 v[108:111], a[164:165], a[116:117], v[108:111]// 00000000DCC0: D3F3006C 1DB2E9A4
	buffer_load_dword v81, s[20:23], 0 offen lds               // 00000000DCC8: E0511000 80050051
	s_add_u32 m0, 0x1000, s49                                  // 00000000DCD0: 807C31FF 00001000
	v_mfma_f32_16x16x32_fp8_fp8 v[108:111], a[166:167], a[118:119], v[108:111]// 00000000DCD8: D3F3006C 1DB2EDA6
	v_mfma_f32_16x16x32_fp8_fp8 v[144:147], a[168:169], a[112:113], v[144:147]// 00000000DCE0: D3F30090 1E42E1A8
	buffer_load_dword v82, s[20:23], 0 offen lds               // 00000000DCE8: E0511000 80050052
	s_add_u32 m0, 0x1100, s49                                  // 00000000DCF0: 807C31FF 00001100
	v_mfma_f32_16x16x32_fp8_fp8 v[144:147], a[170:171], a[114:115], v[144:147]// 00000000DCF8: D3F30090 1E42E5AA
	v_mfma_f32_16x16x32_fp8_fp8 v[144:147], a[172:173], a[116:117], v[144:147]// 00000000DD00: D3F30090 1E42E9AC
	buffer_load_dword v83, s[20:23], 0 offen lds               // 00000000DD08: E0511000 80050053
	s_add_u32 m0, 0, s50                                       // 00000000DD10: 807C3280
	v_mfma_f32_16x16x32_fp8_fp8 v[144:147], a[174:175], a[118:119], v[144:147]// 00000000DD14: D3F30090 1E42EDAE
	v_mfma_f32_16x16x32_fp8_fp8 v[112:115], a[160:161], a[120:121], v[112:115]// 00000000DD1C: D3F30070 1DC2F1A0
	v_mfma_f32_16x16x32_fp8_fp8 v[112:115], a[162:163], a[122:123], v[112:115]// 00000000DD24: D3F30070 1DC2F5A2
	v_mfma_f32_16x16x32_fp8_fp8 v[112:115], a[164:165], a[124:125], v[112:115]// 00000000DD2C: D3F30070 1DC2F9A4
	v_mfma_f32_16x16x32_fp8_fp8 v[112:115], a[166:167], a[126:127], v[112:115]// 00000000DD34: D3F30070 1DC2FDA6
	v_mfma_f32_16x16x32_fp8_fp8 v[148:151], a[168:169], a[120:121], v[148:151]// 00000000DD3C: D3F30094 1E52F1A8
	v_mfma_f32_16x16x32_fp8_fp8 v[148:151], a[170:171], a[122:123], v[148:151]// 00000000DD44: D3F30094 1E52F5AA
	v_mfma_f32_16x16x32_fp8_fp8 v[148:151], a[172:173], a[124:125], v[148:151]// 00000000DD4C: D3F30094 1E52F9AC
	v_mfma_f32_16x16x32_fp8_fp8 v[148:151], a[174:175], a[126:127], v[148:151]// 00000000DD54: D3F30094 1E52FDAE
	v_mfma_f32_16x16x32_fp8_fp8 v[116:119], a[160:161], a[128:129], v[116:119]// 00000000DD5C: D3F30074 1DD301A0
	v_mfma_f32_16x16x32_fp8_fp8 v[116:119], a[162:163], a[130:131], v[116:119]// 00000000DD64: D3F30074 1DD305A2
	v_mfma_f32_16x16x32_fp8_fp8 v[116:119], a[164:165], a[132:133], v[116:119]// 00000000DD6C: D3F30074 1DD309A4
	v_mfma_f32_16x16x32_fp8_fp8 v[116:119], a[166:167], a[134:135], v[116:119]// 00000000DD74: D3F30074 1DD30DA6
	v_mfma_f32_16x16x32_fp8_fp8 v[152:155], a[168:169], a[128:129], v[152:155]// 00000000DD7C: D3F30098 1E6301A8
	v_mfma_f32_16x16x32_fp8_fp8 v[152:155], a[170:171], a[130:131], v[152:155]// 00000000DD84: D3F30098 1E6305AA
	v_mfma_f32_16x16x32_fp8_fp8 v[152:155], a[172:173], a[132:133], v[152:155]// 00000000DD8C: D3F30098 1E6309AC
	v_mfma_f32_16x16x32_fp8_fp8 v[152:155], a[174:175], a[134:135], v[152:155]// 00000000DD94: D3F30098 1E630DAE
	v_mfma_f32_16x16x32_fp8_fp8 v[120:123], a[160:161], a[136:137], v[120:123]// 00000000DD9C: D3F30078 1DE311A0
	v_mfma_f32_16x16x32_fp8_fp8 v[120:123], a[162:163], a[138:139], v[120:123]// 00000000DDA4: D3F30078 1DE315A2
	v_mfma_f32_16x16x32_fp8_fp8 v[120:123], a[164:165], a[140:141], v[120:123]// 00000000DDAC: D3F30078 1DE319A4
	v_mfma_f32_16x16x32_fp8_fp8 v[120:123], a[166:167], a[142:143], v[120:123]// 00000000DDB4: D3F30078 1DE31DA6
	v_mfma_f32_16x16x32_fp8_fp8 v[156:159], a[168:169], a[136:137], v[156:159]// 00000000DDBC: D3F3009C 1E7311A8
	v_mfma_f32_16x16x32_fp8_fp8 v[156:159], a[170:171], a[138:139], v[156:159]// 00000000DDC4: D3F3009C 1E7315AA
	v_mfma_f32_16x16x32_fp8_fp8 v[156:159], a[172:173], a[140:141], v[156:159]// 00000000DDCC: D3F3009C 1E7319AC
	v_mfma_f32_16x16x32_fp8_fp8 v[156:159], a[174:175], a[142:143], v[156:159]// 00000000DDD4: D3F3009C 1E731DAE
	s_waitcnt vmcnt(22)                                        // 00000000DDDC: BF8C4F76
	s_barrier                                                  // 00000000DDE0: BF8A0000
	v_mfma_f32_16x16x32_fp8_fp8 v[160:163], a[176:177], a[72:73], v[160:163]// 00000000DDE4: D3F300A0 1E8291B0
	buffer_load_dwordx4 a[160:163], v84, s[84:87], 0 offen     // 00000000DDEC: E05C1000 8095A054
	v_mfma_f32_16x16x32_fp8_fp8 v[160:163], a[178:179], a[74:75], v[160:163]// 00000000DDF4: D3F300A0 1E8295B2
	v_mfma_f32_16x16x32_fp8_fp8 v[160:163], a[180:181], a[76:77], v[160:163]// 00000000DDFC: D3F300A0 1E8299B4
	ds_read_b128 a[0:3], v2                                    // 00000000DE04: DBFE0000 00000002
	ds_read_b128 a[4:7], v2 offset:64                          // 00000000DE0C: DBFE0040 04000002
	v_mfma_f32_16x16x32_fp8_fp8 v[160:163], a[182:183], a[78:79], v[160:163]// 00000000DE14: D3F300A0 1E829DB6
	v_mfma_f32_16x16x32_fp8_fp8 v[196:199], a[184:185], a[72:73], v[196:199]// 00000000DE1C: D3F300C4 1F1291B8
	buffer_load_dwordx4 a[164:167], v84, s[84:87], 0 offen offset:1024// 00000000DE24: E05C1400 8095A454
	v_mfma_f32_16x16x32_fp8_fp8 v[196:199], a[186:187], a[74:75], v[196:199]// 00000000DE2C: D3F300C4 1F1295BA
	v_mfma_f32_16x16x32_fp8_fp8 v[196:199], a[188:189], a[76:77], v[196:199]// 00000000DE34: D3F300C4 1F1299BC
	ds_read_b128 a[8:11], v2 offset:512                        // 00000000DE3C: DBFE0200 08000002
	ds_read_b128 a[12:15], v2 offset:576                       // 00000000DE44: DBFE0240 0C000002
	v_mfma_f32_16x16x32_fp8_fp8 v[196:199], a[190:191], a[78:79], v[196:199]// 00000000DE4C: D3F300C4 1F129DBE
	v_mfma_f32_16x16x32_fp8_fp8 v[164:167], a[176:177], a[80:81], v[164:167]// 00000000DE54: D3F300A4 1E92A1B0
	buffer_load_dwordx4 a[168:171], v85, s[84:87], 0 offen     // 00000000DE5C: E05C1000 8095A855
	v_mfma_f32_16x16x32_fp8_fp8 v[164:167], a[178:179], a[82:83], v[164:167]// 00000000DE64: D3F300A4 1E92A5B2
	v_mfma_f32_16x16x32_fp8_fp8 v[164:167], a[180:181], a[84:85], v[164:167]// 00000000DE6C: D3F300A4 1E92A9B4
	ds_read_b128 a[16:19], v2 offset:1024                      // 00000000DE74: DBFE0400 10000002
	ds_read_b128 a[20:23], v2 offset:1088                      // 00000000DE7C: DBFE0440 14000002
	v_mfma_f32_16x16x32_fp8_fp8 v[164:167], a[182:183], a[86:87], v[164:167]// 00000000DE84: D3F300A4 1E92ADB6
	v_mfma_f32_16x16x32_fp8_fp8 v[200:203], a[184:185], a[80:81], v[200:203]// 00000000DE8C: D3F300C8 1F22A1B8
	buffer_load_dwordx4 a[172:175], v85, s[84:87], 0 offen offset:1024// 00000000DE94: E05C1400 8095AC55
	v_mfma_f32_16x16x32_fp8_fp8 v[200:203], a[186:187], a[82:83], v[200:203]// 00000000DE9C: D3F300C8 1F22A5BA
	v_mfma_f32_16x16x32_fp8_fp8 v[200:203], a[188:189], a[84:85], v[200:203]// 00000000DEA4: D3F300C8 1F22A9BC
	ds_read_b128 a[24:27], v2 offset:1536                      // 00000000DEAC: DBFE0600 18000002
	ds_read_b128 a[28:31], v2 offset:1600                      // 00000000DEB4: DBFE0640 1C000002
	v_mfma_f32_16x16x32_fp8_fp8 v[200:203], a[190:191], a[86:87], v[200:203]// 00000000DEBC: D3F300C8 1F22ADBE
	v_mfma_f32_16x16x32_fp8_fp8 v[168:171], a[176:177], a[88:89], v[168:171]// 00000000DEC4: D3F300A8 1EA2B1B0
	v_mfma_f32_16x16x32_fp8_fp8 v[168:171], a[178:179], a[90:91], v[168:171]// 00000000DECC: D3F300A8 1EA2B5B2
	v_mfma_f32_16x16x32_fp8_fp8 v[168:171], a[180:181], a[92:93], v[168:171]// 00000000DED4: D3F300A8 1EA2B9B4
	ds_read_b128 a[32:35], v2 offset:2048                      // 00000000DEDC: DBFE0800 20000002
	ds_read_b128 a[36:39], v2 offset:2112                      // 00000000DEE4: DBFE0840 24000002
	v_mfma_f32_16x16x32_fp8_fp8 v[168:171], a[182:183], a[94:95], v[168:171]// 00000000DEEC: D3F300A8 1EA2BDB6
	v_mfma_f32_16x16x32_fp8_fp8 v[204:207], a[184:185], a[88:89], v[204:207]// 00000000DEF4: D3F300CC 1F32B1B8
	v_mfma_f32_16x16x32_fp8_fp8 v[204:207], a[186:187], a[90:91], v[204:207]// 00000000DEFC: D3F300CC 1F32B5BA
	v_mfma_f32_16x16x32_fp8_fp8 v[204:207], a[188:189], a[92:93], v[204:207]// 00000000DF04: D3F300CC 1F32B9BC
	ds_read_b128 a[40:43], v2 offset:2560                      // 00000000DF0C: DBFE0A00 28000002
	ds_read_b128 a[44:47], v2 offset:2624                      // 00000000DF14: DBFE0A40 2C000002
	v_mfma_f32_16x16x32_fp8_fp8 v[204:207], a[190:191], a[94:95], v[204:207]// 00000000DF1C: D3F300CC 1F32BDBE
	v_mfma_f32_16x16x32_fp8_fp8 v[172:175], a[176:177], a[96:97], v[172:175]// 00000000DF24: D3F300AC 1EB2C1B0
	v_mfma_f32_16x16x32_fp8_fp8 v[172:175], a[178:179], a[98:99], v[172:175]// 00000000DF2C: D3F300AC 1EB2C5B2
	v_mfma_f32_16x16x32_fp8_fp8 v[172:175], a[180:181], a[100:101], v[172:175]// 00000000DF34: D3F300AC 1EB2C9B4
	ds_read_b128 a[48:51], v2 offset:3072                      // 00000000DF3C: DBFE0C00 30000002
	ds_read_b128 a[52:55], v2 offset:3136                      // 00000000DF44: DBFE0C40 34000002
	v_mfma_f32_16x16x32_fp8_fp8 v[172:175], a[182:183], a[102:103], v[172:175]// 00000000DF4C: D3F300AC 1EB2CDB6
	v_mfma_f32_16x16x32_fp8_fp8 v[208:211], a[184:185], a[96:97], v[208:211]// 00000000DF54: D3F300D0 1F42C1B8
	v_mfma_f32_16x16x32_fp8_fp8 v[208:211], a[186:187], a[98:99], v[208:211]// 00000000DF5C: D3F300D0 1F42C5BA
	v_mfma_f32_16x16x32_fp8_fp8 v[208:211], a[188:189], a[100:101], v[208:211]// 00000000DF64: D3F300D0 1F42C9BC
	ds_read_b128 a[56:59], v2 offset:3584                      // 00000000DF6C: DBFE0E00 38000002
	ds_read_b128 a[60:63], v2 offset:3648                      // 00000000DF74: DBFE0E40 3C000002
	v_mfma_f32_16x16x32_fp8_fp8 v[208:211], a[190:191], a[102:103], v[208:211]// 00000000DF7C: D3F300D0 1F42CDBE
	v_mfma_f32_16x16x32_fp8_fp8 v[176:179], a[176:177], a[104:105], v[176:179]// 00000000DF84: D3F300B0 1EC2D1B0
	v_mfma_f32_16x16x32_fp8_fp8 v[176:179], a[178:179], a[106:107], v[176:179]// 00000000DF8C: D3F300B0 1EC2D5B2
	v_mfma_f32_16x16x32_fp8_fp8 v[176:179], a[180:181], a[108:109], v[176:179]// 00000000DF94: D3F300B0 1EC2D9B4
	ds_read_b128 a[64:67], v2 offset:4096                      // 00000000DF9C: DBFE1000 40000002
	ds_read_b128 a[68:71], v2 offset:4160                      // 00000000DFA4: DBFE1040 44000002
	v_mfma_f32_16x16x32_fp8_fp8 v[176:179], a[182:183], a[110:111], v[176:179]// 00000000DFAC: D3F300B0 1EC2DDB6
	v_mfma_f32_16x16x32_fp8_fp8 v[212:215], a[184:185], a[104:105], v[212:215]// 00000000DFB4: D3F300D4 1F52D1B8
	v_mfma_f32_16x16x32_fp8_fp8 v[212:215], a[186:187], a[106:107], v[212:215]// 00000000DFBC: D3F300D4 1F52D5BA
	v_mfma_f32_16x16x32_fp8_fp8 v[212:215], a[188:189], a[108:109], v[212:215]// 00000000DFC4: D3F300D4 1F52D9BC
	v_mfma_f32_16x16x32_fp8_fp8 v[212:215], a[190:191], a[110:111], v[212:215]// 00000000DFCC: D3F300D4 1F52DDBE
	v_mfma_f32_16x16x32_fp8_fp8 v[180:183], a[176:177], a[112:113], v[180:183]// 00000000DFD4: D3F300B4 1ED2E1B0
	v_mfma_f32_16x16x32_fp8_fp8 v[180:183], a[178:179], a[114:115], v[180:183]// 00000000DFDC: D3F300B4 1ED2E5B2
	v_mfma_f32_16x16x32_fp8_fp8 v[180:183], a[180:181], a[116:117], v[180:183]// 00000000DFE4: D3F300B4 1ED2E9B4
	v_mfma_f32_16x16x32_fp8_fp8 v[180:183], a[182:183], a[118:119], v[180:183]// 00000000DFEC: D3F300B4 1ED2EDB6
	v_mfma_f32_16x16x32_fp8_fp8 v[216:219], a[184:185], a[112:113], v[216:219]// 00000000DFF4: D3F300D8 1F62E1B8
	v_mfma_f32_16x16x32_fp8_fp8 v[216:219], a[186:187], a[114:115], v[216:219]// 00000000DFFC: D3F300D8 1F62E5BA
	v_mfma_f32_16x16x32_fp8_fp8 v[216:219], a[188:189], a[116:117], v[216:219]// 00000000E004: D3F300D8 1F62E9BC
	v_mfma_f32_16x16x32_fp8_fp8 v[216:219], a[190:191], a[118:119], v[216:219]// 00000000E00C: D3F300D8 1F62EDBE
	v_mfma_f32_16x16x32_fp8_fp8 v[184:187], a[176:177], a[120:121], v[184:187]// 00000000E014: D3F300B8 1EE2F1B0
	v_mfma_f32_16x16x32_fp8_fp8 v[184:187], a[178:179], a[122:123], v[184:187]// 00000000E01C: D3F300B8 1EE2F5B2
	v_mfma_f32_16x16x32_fp8_fp8 v[184:187], a[180:181], a[124:125], v[184:187]// 00000000E024: D3F300B8 1EE2F9B4
	v_mfma_f32_16x16x32_fp8_fp8 v[184:187], a[182:183], a[126:127], v[184:187]// 00000000E02C: D3F300B8 1EE2FDB6
	v_mfma_f32_16x16x32_fp8_fp8 v[220:223], a[184:185], a[120:121], v[220:223]// 00000000E034: D3F300DC 1F72F1B8
	v_mfma_f32_16x16x32_fp8_fp8 v[220:223], a[186:187], a[122:123], v[220:223]// 00000000E03C: D3F300DC 1F72F5BA
	v_mfma_f32_16x16x32_fp8_fp8 v[220:223], a[188:189], a[124:125], v[220:223]// 00000000E044: D3F300DC 1F72F9BC
	v_mfma_f32_16x16x32_fp8_fp8 v[220:223], a[190:191], a[126:127], v[220:223]// 00000000E04C: D3F300DC 1F72FDBE
	v_mfma_f32_16x16x32_fp8_fp8 v[188:191], a[176:177], a[128:129], v[188:191]// 00000000E054: D3F300BC 1EF301B0
	v_mfma_f32_16x16x32_fp8_fp8 v[188:191], a[178:179], a[130:131], v[188:191]// 00000000E05C: D3F300BC 1EF305B2
	v_mfma_f32_16x16x32_fp8_fp8 v[188:191], a[180:181], a[132:133], v[188:191]// 00000000E064: D3F300BC 1EF309B4
	v_mfma_f32_16x16x32_fp8_fp8 v[188:191], a[182:183], a[134:135], v[188:191]// 00000000E06C: D3F300BC 1EF30DB6
	v_mfma_f32_16x16x32_fp8_fp8 v[224:227], a[184:185], a[128:129], v[224:227]// 00000000E074: D3F300E0 1F8301B8
	v_mfma_f32_16x16x32_fp8_fp8 v[224:227], a[186:187], a[130:131], v[224:227]// 00000000E07C: D3F300E0 1F8305BA
	v_mfma_f32_16x16x32_fp8_fp8 v[224:227], a[188:189], a[132:133], v[224:227]// 00000000E084: D3F300E0 1F8309BC
	v_mfma_f32_16x16x32_fp8_fp8 v[224:227], a[190:191], a[134:135], v[224:227]// 00000000E08C: D3F300E0 1F830DBE
	v_mfma_f32_16x16x32_fp8_fp8 v[192:195], a[176:177], a[136:137], v[192:195]// 00000000E094: D3F300C0 1F0311B0
	s_add_u32 s60, 0x180, s80                                  // 00000000E09C: 803C50FF 00000180
	s_cmp_lt_u32 s60, s81                                      // 00000000E0A4: BF0A513C
	s_cselect_b32 s57, s57, 0                                  // 00000000E0A8: 85398039
	v_mfma_f32_16x16x32_fp8_fp8 v[192:195], a[178:179], a[138:139], v[192:195]// 00000000E0AC: D3F300C0 1F0315B2
	s_add_u32 s60, 0x100, s80                                  // 00000000E0B4: 803C50FF 00000100
	s_cmp_lt_u32 s60, s81                                      // 00000000E0BC: BF0A513C
	s_cselect_b32 s58, s58, 0                                  // 00000000E0C0: 853A803A
	v_mfma_f32_16x16x32_fp8_fp8 v[192:195], a[180:181], a[140:141], v[192:195]// 00000000E0C4: D3F300C0 1F0319B4
	s_add_u32 s60, 0x100, s80                                  // 00000000E0CC: 803C50FF 00000100
	s_cmp_lt_u32 s60, s81                                      // 00000000E0D4: BF0A513C
	s_cselect_b32 s83, s83, 0                                  // 00000000E0D8: 85538053
	v_mfma_f32_16x16x32_fp8_fp8 v[192:195], a[182:183], a[142:143], v[192:195]// 00000000E0DC: D3F300C0 1F031DB6
	s_add_u32 s24, s58, s24                                    // 00000000E0E4: 8018183A
	s_addc_u32 s25, 0, s25                                     // 00000000E0E8: 82191980
	v_mfma_f32_16x16x32_fp8_fp8 v[228:231], a[184:185], a[136:137], v[228:231]// 00000000E0EC: D3F300E4 1F9311B8
	s_add_u32 s20, s57, s20                                    // 00000000E0F4: 80141439
	s_addc_u32 s21, 0, s21                                     // 00000000E0F8: 82151580
	v_mfma_f32_16x16x32_fp8_fp8 v[228:231], a[186:187], a[138:139], v[228:231]// 00000000E0FC: D3F300E4 1F9315BA
	s_add_u32 s84, s83, s84                                    // 00000000E104: 80545453
	s_addc_u32 s85, 0, s85                                     // 00000000E108: 82555580
	v_mfma_f32_16x16x32_fp8_fp8 v[228:231], a[188:189], a[140:141], v[228:231]// 00000000E10C: D3F300E4 1F9319BC
	v_mfma_f32_16x16x32_fp8_fp8 v[228:231], a[190:191], a[142:143], v[228:231]// 00000000E114: D3F300E4 1F931DBE
	s_addk_i32 s80, 0x80                                       // 00000000E11C: B7500080
	s_cmp_lt_i32 s80, s81                                      // 00000000E120: BF045150
	s_cbranch_scc0 label_2DCE                                  // 00000000E124: BF840001
	s_branch label_239B                                        // 00000000E128: BF82F5CD

000000000000e12c <label_2DCE>:
	v_mul_f32_dpp v88, v24, v88 row_newbcast:0 row_mask:0xf bank_mask:0xf// 00000000E12C: 0AB0B0FA FF015018
	v_mul_f32_dpp v89, v24, v89 row_newbcast:1 row_mask:0xf bank_mask:0xf// 00000000E134: 0AB2B2FA FF015118
	v_mul_f32_dpp v90, v24, v90 row_newbcast:2 row_mask:0xf bank_mask:0xf// 00000000E13C: 0AB4B4FA FF015218
	v_mul_f32_dpp v91, v24, v91 row_newbcast:3 row_mask:0xf bank_mask:0xf// 00000000E144: 0AB6B6FA FF015318
	v_mul_f32_dpp v92, v24, v92 row_newbcast:0 row_mask:0xf bank_mask:0xf// 00000000E14C: 0AB8B8FA FF015018
	v_mul_f32_dpp v93, v24, v93 row_newbcast:1 row_mask:0xf bank_mask:0xf// 00000000E154: 0ABABAFA FF015118
	v_mul_f32_dpp v94, v24, v94 row_newbcast:2 row_mask:0xf bank_mask:0xf// 00000000E15C: 0ABCBCFA FF015218
	v_mul_f32_dpp v95, v24, v95 row_newbcast:3 row_mask:0xf bank_mask:0xf// 00000000E164: 0ABEBEFA FF015318
	v_mul_f32_dpp v96, v24, v96 row_newbcast:0 row_mask:0xf bank_mask:0xf// 00000000E16C: 0AC0C0FA FF015018
	v_mul_f32_dpp v97, v24, v97 row_newbcast:1 row_mask:0xf bank_mask:0xf// 00000000E174: 0AC2C2FA FF015118
	v_mul_f32_dpp v98, v24, v98 row_newbcast:2 row_mask:0xf bank_mask:0xf// 00000000E17C: 0AC4C4FA FF015218
	v_mul_f32_dpp v99, v24, v99 row_newbcast:3 row_mask:0xf bank_mask:0xf// 00000000E184: 0AC6C6FA FF015318
	v_mul_f32_dpp v100, v24, v100 row_newbcast:0 row_mask:0xf bank_mask:0xf// 00000000E18C: 0AC8C8FA FF015018
	v_mul_f32_dpp v101, v24, v101 row_newbcast:1 row_mask:0xf bank_mask:0xf// 00000000E194: 0ACACAFA FF015118
	v_mul_f32_dpp v102, v24, v102 row_newbcast:2 row_mask:0xf bank_mask:0xf// 00000000E19C: 0ACCCCFA FF015218
	v_mul_f32_dpp v103, v24, v103 row_newbcast:3 row_mask:0xf bank_mask:0xf// 00000000E1A4: 0ACECEFA FF015318
	v_mul_f32_dpp v104, v24, v104 row_newbcast:0 row_mask:0xf bank_mask:0xf// 00000000E1AC: 0AD0D0FA FF015018
	v_mul_f32_dpp v105, v24, v105 row_newbcast:1 row_mask:0xf bank_mask:0xf// 00000000E1B4: 0AD2D2FA FF015118
	v_mul_f32_dpp v106, v24, v106 row_newbcast:2 row_mask:0xf bank_mask:0xf// 00000000E1BC: 0AD4D4FA FF015218
	v_mul_f32_dpp v107, v24, v107 row_newbcast:3 row_mask:0xf bank_mask:0xf// 00000000E1C4: 0AD6D6FA FF015318
	v_mul_f32_dpp v108, v24, v108 row_newbcast:0 row_mask:0xf bank_mask:0xf// 00000000E1CC: 0AD8D8FA FF015018
	v_mul_f32_dpp v109, v24, v109 row_newbcast:1 row_mask:0xf bank_mask:0xf// 00000000E1D4: 0ADADAFA FF015118
	v_mul_f32_dpp v110, v24, v110 row_newbcast:2 row_mask:0xf bank_mask:0xf// 00000000E1DC: 0ADCDCFA FF015218
	v_mul_f32_dpp v111, v24, v111 row_newbcast:3 row_mask:0xf bank_mask:0xf// 00000000E1E4: 0ADEDEFA FF015318
	v_mul_f32_dpp v112, v24, v112 row_newbcast:0 row_mask:0xf bank_mask:0xf// 00000000E1EC: 0AE0E0FA FF015018
	v_mul_f32_dpp v113, v24, v113 row_newbcast:1 row_mask:0xf bank_mask:0xf// 00000000E1F4: 0AE2E2FA FF015118
	v_mul_f32_dpp v114, v24, v114 row_newbcast:2 row_mask:0xf bank_mask:0xf// 00000000E1FC: 0AE4E4FA FF015218
	v_mul_f32_dpp v115, v24, v115 row_newbcast:3 row_mask:0xf bank_mask:0xf// 00000000E204: 0AE6E6FA FF015318
	v_mul_f32_dpp v116, v24, v116 row_newbcast:0 row_mask:0xf bank_mask:0xf// 00000000E20C: 0AE8E8FA FF015018
	v_mul_f32_dpp v117, v24, v117 row_newbcast:1 row_mask:0xf bank_mask:0xf// 00000000E214: 0AEAEAFA FF015118
	v_mul_f32_dpp v118, v24, v118 row_newbcast:2 row_mask:0xf bank_mask:0xf// 00000000E21C: 0AECECFA FF015218
	v_mul_f32_dpp v119, v24, v119 row_newbcast:3 row_mask:0xf bank_mask:0xf// 00000000E224: 0AEEEEFA FF015318
	v_mul_f32_dpp v120, v24, v120 row_newbcast:0 row_mask:0xf bank_mask:0xf// 00000000E22C: 0AF0F0FA FF015018
	v_mul_f32_dpp v121, v24, v121 row_newbcast:1 row_mask:0xf bank_mask:0xf// 00000000E234: 0AF2F2FA FF015118
	v_mul_f32_dpp v122, v24, v122 row_newbcast:2 row_mask:0xf bank_mask:0xf// 00000000E23C: 0AF4F4FA FF015218
	v_mul_f32_dpp v123, v24, v123 row_newbcast:3 row_mask:0xf bank_mask:0xf// 00000000E244: 0AF6F6FA FF015318
	v_mul_f32_dpp v124, v24, v124 row_newbcast:4 row_mask:0xf bank_mask:0xf// 00000000E24C: 0AF8F8FA FF015418
	v_mul_f32_dpp v125, v24, v125 row_newbcast:5 row_mask:0xf bank_mask:0xf// 00000000E254: 0AFAFAFA FF015518
	v_mul_f32_dpp v126, v24, v126 row_newbcast:6 row_mask:0xf bank_mask:0xf// 00000000E25C: 0AFCFCFA FF015618
	v_mul_f32_dpp v127, v24, v127 row_newbcast:7 row_mask:0xf bank_mask:0xf// 00000000E264: 0AFEFEFA FF015718
	v_mul_f32_dpp v128, v24, v128 row_newbcast:4 row_mask:0xf bank_mask:0xf// 00000000E26C: 0B0100FA FF015418
	v_mul_f32_dpp v129, v24, v129 row_newbcast:5 row_mask:0xf bank_mask:0xf// 00000000E274: 0B0302FA FF015518
	v_mul_f32_dpp v130, v24, v130 row_newbcast:6 row_mask:0xf bank_mask:0xf// 00000000E27C: 0B0504FA FF015618
	v_mul_f32_dpp v131, v24, v131 row_newbcast:7 row_mask:0xf bank_mask:0xf// 00000000E284: 0B0706FA FF015718
	v_mul_f32_dpp v132, v24, v132 row_newbcast:4 row_mask:0xf bank_mask:0xf// 00000000E28C: 0B0908FA FF015418
	v_mul_f32_dpp v133, v24, v133 row_newbcast:5 row_mask:0xf bank_mask:0xf// 00000000E294: 0B0B0AFA FF015518
	v_mul_f32_dpp v134, v24, v134 row_newbcast:6 row_mask:0xf bank_mask:0xf// 00000000E29C: 0B0D0CFA FF015618
	v_mul_f32_dpp v135, v24, v135 row_newbcast:7 row_mask:0xf bank_mask:0xf// 00000000E2A4: 0B0F0EFA FF015718
	v_mul_f32_dpp v136, v24, v136 row_newbcast:4 row_mask:0xf bank_mask:0xf// 00000000E2AC: 0B1110FA FF015418
	v_mul_f32_dpp v137, v24, v137 row_newbcast:5 row_mask:0xf bank_mask:0xf// 00000000E2B4: 0B1312FA FF015518
	v_mul_f32_dpp v138, v24, v138 row_newbcast:6 row_mask:0xf bank_mask:0xf// 00000000E2BC: 0B1514FA FF015618
	v_mul_f32_dpp v139, v24, v139 row_newbcast:7 row_mask:0xf bank_mask:0xf// 00000000E2C4: 0B1716FA FF015718
	v_mul_f32_dpp v140, v24, v140 row_newbcast:4 row_mask:0xf bank_mask:0xf// 00000000E2CC: 0B1918FA FF015418
	v_mul_f32_dpp v141, v24, v141 row_newbcast:5 row_mask:0xf bank_mask:0xf// 00000000E2D4: 0B1B1AFA FF015518
	v_mul_f32_dpp v142, v24, v142 row_newbcast:6 row_mask:0xf bank_mask:0xf// 00000000E2DC: 0B1D1CFA FF015618
	v_mul_f32_dpp v143, v24, v143 row_newbcast:7 row_mask:0xf bank_mask:0xf// 00000000E2E4: 0B1F1EFA FF015718
	v_mul_f32_dpp v144, v24, v144 row_newbcast:4 row_mask:0xf bank_mask:0xf// 00000000E2EC: 0B2120FA FF015418
	v_mul_f32_dpp v145, v24, v145 row_newbcast:5 row_mask:0xf bank_mask:0xf// 00000000E2F4: 0B2322FA FF015518
	v_mul_f32_dpp v146, v24, v146 row_newbcast:6 row_mask:0xf bank_mask:0xf// 00000000E2FC: 0B2524FA FF015618
	v_mul_f32_dpp v147, v24, v147 row_newbcast:7 row_mask:0xf bank_mask:0xf// 00000000E304: 0B2726FA FF015718
	v_mul_f32_dpp v148, v24, v148 row_newbcast:4 row_mask:0xf bank_mask:0xf// 00000000E30C: 0B2928FA FF015418
	v_mul_f32_dpp v149, v24, v149 row_newbcast:5 row_mask:0xf bank_mask:0xf// 00000000E314: 0B2B2AFA FF015518
	v_mul_f32_dpp v150, v24, v150 row_newbcast:6 row_mask:0xf bank_mask:0xf// 00000000E31C: 0B2D2CFA FF015618
	v_mul_f32_dpp v151, v24, v151 row_newbcast:7 row_mask:0xf bank_mask:0xf// 00000000E324: 0B2F2EFA FF015718
	v_mul_f32_dpp v152, v24, v152 row_newbcast:4 row_mask:0xf bank_mask:0xf// 00000000E32C: 0B3130FA FF015418
	v_mul_f32_dpp v153, v24, v153 row_newbcast:5 row_mask:0xf bank_mask:0xf// 00000000E334: 0B3332FA FF015518
	v_mul_f32_dpp v154, v24, v154 row_newbcast:6 row_mask:0xf bank_mask:0xf// 00000000E33C: 0B3534FA FF015618
	v_mul_f32_dpp v155, v24, v155 row_newbcast:7 row_mask:0xf bank_mask:0xf// 00000000E344: 0B3736FA FF015718
	v_mul_f32_dpp v156, v24, v156 row_newbcast:4 row_mask:0xf bank_mask:0xf// 00000000E34C: 0B3938FA FF015418
	v_mul_f32_dpp v157, v24, v157 row_newbcast:5 row_mask:0xf bank_mask:0xf// 00000000E354: 0B3B3AFA FF015518
	v_mul_f32_dpp v158, v24, v158 row_newbcast:6 row_mask:0xf bank_mask:0xf// 00000000E35C: 0B3D3CFA FF015618
	v_mul_f32_dpp v159, v24, v159 row_newbcast:7 row_mask:0xf bank_mask:0xf// 00000000E364: 0B3F3EFA FF015718
	v_mul_f32_dpp v160, v27, v160 row_newbcast:0 row_mask:0xf bank_mask:0xf// 00000000E36C: 0B4140FA FF01501B
	v_mul_f32_dpp v161, v27, v161 row_newbcast:1 row_mask:0xf bank_mask:0xf// 00000000E374: 0B4342FA FF01511B
	v_mul_f32_dpp v162, v27, v162 row_newbcast:2 row_mask:0xf bank_mask:0xf// 00000000E37C: 0B4544FA FF01521B
	v_mul_f32_dpp v163, v27, v163 row_newbcast:3 row_mask:0xf bank_mask:0xf// 00000000E384: 0B4746FA FF01531B
	v_mul_f32_dpp v164, v27, v164 row_newbcast:0 row_mask:0xf bank_mask:0xf// 00000000E38C: 0B4948FA FF01501B
	v_mul_f32_dpp v165, v27, v165 row_newbcast:1 row_mask:0xf bank_mask:0xf// 00000000E394: 0B4B4AFA FF01511B
	v_mul_f32_dpp v166, v27, v166 row_newbcast:2 row_mask:0xf bank_mask:0xf// 00000000E39C: 0B4D4CFA FF01521B
	v_mul_f32_dpp v167, v27, v167 row_newbcast:3 row_mask:0xf bank_mask:0xf// 00000000E3A4: 0B4F4EFA FF01531B
	v_mul_f32_dpp v168, v27, v168 row_newbcast:0 row_mask:0xf bank_mask:0xf// 00000000E3AC: 0B5150FA FF01501B
	v_mul_f32_dpp v169, v27, v169 row_newbcast:1 row_mask:0xf bank_mask:0xf// 00000000E3B4: 0B5352FA FF01511B
	v_mul_f32_dpp v170, v27, v170 row_newbcast:2 row_mask:0xf bank_mask:0xf// 00000000E3BC: 0B5554FA FF01521B
	v_mul_f32_dpp v171, v27, v171 row_newbcast:3 row_mask:0xf bank_mask:0xf// 00000000E3C4: 0B5756FA FF01531B
	v_mul_f32_dpp v172, v27, v172 row_newbcast:0 row_mask:0xf bank_mask:0xf// 00000000E3CC: 0B5958FA FF01501B
	v_mul_f32_dpp v173, v27, v173 row_newbcast:1 row_mask:0xf bank_mask:0xf// 00000000E3D4: 0B5B5AFA FF01511B
	v_mul_f32_dpp v174, v27, v174 row_newbcast:2 row_mask:0xf bank_mask:0xf// 00000000E3DC: 0B5D5CFA FF01521B
	v_mul_f32_dpp v175, v27, v175 row_newbcast:3 row_mask:0xf bank_mask:0xf// 00000000E3E4: 0B5F5EFA FF01531B
	v_mul_f32_dpp v176, v27, v176 row_newbcast:0 row_mask:0xf bank_mask:0xf// 00000000E3EC: 0B6160FA FF01501B
	v_mul_f32_dpp v177, v27, v177 row_newbcast:1 row_mask:0xf bank_mask:0xf// 00000000E3F4: 0B6362FA FF01511B
	v_mul_f32_dpp v178, v27, v178 row_newbcast:2 row_mask:0xf bank_mask:0xf// 00000000E3FC: 0B6564FA FF01521B
	v_mul_f32_dpp v179, v27, v179 row_newbcast:3 row_mask:0xf bank_mask:0xf// 00000000E404: 0B6766FA FF01531B
	v_mul_f32_dpp v180, v27, v180 row_newbcast:0 row_mask:0xf bank_mask:0xf// 00000000E40C: 0B6968FA FF01501B
	v_mul_f32_dpp v181, v27, v181 row_newbcast:1 row_mask:0xf bank_mask:0xf// 00000000E414: 0B6B6AFA FF01511B
	v_mul_f32_dpp v182, v27, v182 row_newbcast:2 row_mask:0xf bank_mask:0xf// 00000000E41C: 0B6D6CFA FF01521B
	v_mul_f32_dpp v183, v27, v183 row_newbcast:3 row_mask:0xf bank_mask:0xf// 00000000E424: 0B6F6EFA FF01531B
	v_mul_f32_dpp v184, v27, v184 row_newbcast:0 row_mask:0xf bank_mask:0xf// 00000000E42C: 0B7170FA FF01501B
	v_mul_f32_dpp v185, v27, v185 row_newbcast:1 row_mask:0xf bank_mask:0xf// 00000000E434: 0B7372FA FF01511B
	v_mul_f32_dpp v186, v27, v186 row_newbcast:2 row_mask:0xf bank_mask:0xf// 00000000E43C: 0B7574FA FF01521B
	v_mul_f32_dpp v187, v27, v187 row_newbcast:3 row_mask:0xf bank_mask:0xf// 00000000E444: 0B7776FA FF01531B
	v_mul_f32_dpp v188, v27, v188 row_newbcast:0 row_mask:0xf bank_mask:0xf// 00000000E44C: 0B7978FA FF01501B
	v_mul_f32_dpp v189, v27, v189 row_newbcast:1 row_mask:0xf bank_mask:0xf// 00000000E454: 0B7B7AFA FF01511B
	v_mul_f32_dpp v190, v27, v190 row_newbcast:2 row_mask:0xf bank_mask:0xf// 00000000E45C: 0B7D7CFA FF01521B
	v_mul_f32_dpp v191, v27, v191 row_newbcast:3 row_mask:0xf bank_mask:0xf// 00000000E464: 0B7F7EFA FF01531B
	v_mul_f32_dpp v192, v27, v192 row_newbcast:0 row_mask:0xf bank_mask:0xf// 00000000E46C: 0B8180FA FF01501B
	v_mul_f32_dpp v193, v27, v193 row_newbcast:1 row_mask:0xf bank_mask:0xf// 00000000E474: 0B8382FA FF01511B
	v_mul_f32_dpp v194, v27, v194 row_newbcast:2 row_mask:0xf bank_mask:0xf// 00000000E47C: 0B8584FA FF01521B
	v_mul_f32_dpp v195, v27, v195 row_newbcast:3 row_mask:0xf bank_mask:0xf// 00000000E484: 0B8786FA FF01531B
	v_mul_f32_dpp v196, v27, v196 row_newbcast:4 row_mask:0xf bank_mask:0xf// 00000000E48C: 0B8988FA FF01541B
	v_mul_f32_dpp v197, v27, v197 row_newbcast:5 row_mask:0xf bank_mask:0xf// 00000000E494: 0B8B8AFA FF01551B
	v_mul_f32_dpp v198, v27, v198 row_newbcast:6 row_mask:0xf bank_mask:0xf// 00000000E49C: 0B8D8CFA FF01561B
	v_mul_f32_dpp v199, v27, v199 row_newbcast:7 row_mask:0xf bank_mask:0xf// 00000000E4A4: 0B8F8EFA FF01571B
	v_mul_f32_dpp v200, v27, v200 row_newbcast:4 row_mask:0xf bank_mask:0xf// 00000000E4AC: 0B9190FA FF01541B
	v_mul_f32_dpp v201, v27, v201 row_newbcast:5 row_mask:0xf bank_mask:0xf// 00000000E4B4: 0B9392FA FF01551B
	v_mul_f32_dpp v202, v27, v202 row_newbcast:6 row_mask:0xf bank_mask:0xf// 00000000E4BC: 0B9594FA FF01561B
	v_mul_f32_dpp v203, v27, v203 row_newbcast:7 row_mask:0xf bank_mask:0xf// 00000000E4C4: 0B9796FA FF01571B
	v_mul_f32_dpp v204, v27, v204 row_newbcast:4 row_mask:0xf bank_mask:0xf// 00000000E4CC: 0B9998FA FF01541B
	v_mul_f32_dpp v205, v27, v205 row_newbcast:5 row_mask:0xf bank_mask:0xf// 00000000E4D4: 0B9B9AFA FF01551B
	v_mul_f32_dpp v206, v27, v206 row_newbcast:6 row_mask:0xf bank_mask:0xf// 00000000E4DC: 0B9D9CFA FF01561B
	v_mul_f32_dpp v207, v27, v207 row_newbcast:7 row_mask:0xf bank_mask:0xf// 00000000E4E4: 0B9F9EFA FF01571B
	v_mul_f32_dpp v208, v27, v208 row_newbcast:4 row_mask:0xf bank_mask:0xf// 00000000E4EC: 0BA1A0FA FF01541B
	v_mul_f32_dpp v209, v27, v209 row_newbcast:5 row_mask:0xf bank_mask:0xf// 00000000E4F4: 0BA3A2FA FF01551B
	v_mul_f32_dpp v210, v27, v210 row_newbcast:6 row_mask:0xf bank_mask:0xf// 00000000E4FC: 0BA5A4FA FF01561B
	v_mul_f32_dpp v211, v27, v211 row_newbcast:7 row_mask:0xf bank_mask:0xf// 00000000E504: 0BA7A6FA FF01571B
	v_mul_f32_dpp v212, v27, v212 row_newbcast:4 row_mask:0xf bank_mask:0xf// 00000000E50C: 0BA9A8FA FF01541B
	v_mul_f32_dpp v213, v27, v213 row_newbcast:5 row_mask:0xf bank_mask:0xf// 00000000E514: 0BABAAFA FF01551B
	v_mul_f32_dpp v214, v27, v214 row_newbcast:6 row_mask:0xf bank_mask:0xf// 00000000E51C: 0BADACFA FF01561B
	v_mul_f32_dpp v215, v27, v215 row_newbcast:7 row_mask:0xf bank_mask:0xf// 00000000E524: 0BAFAEFA FF01571B
	v_mul_f32_dpp v216, v27, v216 row_newbcast:4 row_mask:0xf bank_mask:0xf// 00000000E52C: 0BB1B0FA FF01541B
	v_mul_f32_dpp v217, v27, v217 row_newbcast:5 row_mask:0xf bank_mask:0xf// 00000000E534: 0BB3B2FA FF01551B
	v_mul_f32_dpp v218, v27, v218 row_newbcast:6 row_mask:0xf bank_mask:0xf// 00000000E53C: 0BB5B4FA FF01561B
	v_mul_f32_dpp v219, v27, v219 row_newbcast:7 row_mask:0xf bank_mask:0xf// 00000000E544: 0BB7B6FA FF01571B
	v_mul_f32_dpp v220, v27, v220 row_newbcast:4 row_mask:0xf bank_mask:0xf// 00000000E54C: 0BB9B8FA FF01541B
	v_mul_f32_dpp v221, v27, v221 row_newbcast:5 row_mask:0xf bank_mask:0xf// 00000000E554: 0BBBBAFA FF01551B
	v_mul_f32_dpp v222, v27, v222 row_newbcast:6 row_mask:0xf bank_mask:0xf// 00000000E55C: 0BBDBCFA FF01561B
	v_mul_f32_dpp v223, v27, v223 row_newbcast:7 row_mask:0xf bank_mask:0xf// 00000000E564: 0BBFBEFA FF01571B
	v_mul_f32_dpp v224, v27, v224 row_newbcast:4 row_mask:0xf bank_mask:0xf// 00000000E56C: 0BC1C0FA FF01541B
	v_mul_f32_dpp v225, v27, v225 row_newbcast:5 row_mask:0xf bank_mask:0xf// 00000000E574: 0BC3C2FA FF01551B
	v_mul_f32_dpp v226, v27, v226 row_newbcast:6 row_mask:0xf bank_mask:0xf// 00000000E57C: 0BC5C4FA FF01561B
	v_mul_f32_dpp v227, v27, v227 row_newbcast:7 row_mask:0xf bank_mask:0xf// 00000000E584: 0BC7C6FA FF01571B
	v_mul_f32_dpp v228, v27, v228 row_newbcast:4 row_mask:0xf bank_mask:0xf// 00000000E58C: 0BC9C8FA FF01541B
	v_mul_f32_dpp v229, v27, v229 row_newbcast:5 row_mask:0xf bank_mask:0xf// 00000000E594: 0BCBCAFA FF01551B
	v_mul_f32_dpp v230, v27, v230 row_newbcast:6 row_mask:0xf bank_mask:0xf// 00000000E59C: 0BCDCCFA FF01561B
	v_mul_f32_dpp v231, v27, v231 row_newbcast:7 row_mask:0xf bank_mask:0xf// 00000000E5A4: 0BCFCEFA FF01571B
	v_mul_f32_e32 v39, v39, v232                               // 00000000E5AC: 0A4FD127
	v_mov_b32_e32 v4, v39                                      // 00000000E5B0: 7E080327
	v_mov_b32_e32 v5, v4                                       // 00000000E5B4: 7E0A0304
	v_pk_mul_f32 v[88:89], v[4:5], v[88:89]                    // 00000000E5B8: D3B14058 1802B104
	v_pk_mul_f32 v[160:161], v[4:5], v[160:161]                // 00000000E5C0: D3B140A0 18034104
	v_pk_mul_f32 v[90:91], v[4:5], v[90:91]                    // 00000000E5C8: D3B1405A 1802B504
	v_pk_mul_f32 v[162:163], v[4:5], v[162:163]                // 00000000E5D0: D3B140A2 18034504
	v_pk_mul_f32 v[124:125], v[4:5], v[124:125]                // 00000000E5D8: D3B1407C 1802F904
	v_pk_mul_f32 v[196:197], v[4:5], v[196:197]                // 00000000E5E0: D3B140C4 18038904
	v_pk_mul_f32 v[126:127], v[4:5], v[126:127]                // 00000000E5E8: D3B1407E 1802FD04
	v_pk_mul_f32 v[198:199], v[4:5], v[198:199]                // 00000000E5F0: D3B140C6 18038D04
	v_mul_f32_e32 v40, v40, v233                               // 00000000E5F8: 0A51D328
	v_mov_b32_e32 v4, v40                                      // 00000000E5FC: 7E080328
	v_mov_b32_e32 v5, v4                                       // 00000000E600: 7E0A0304
	v_pk_mul_f32 v[92:93], v[4:5], v[92:93]                    // 00000000E604: D3B1405C 1802B904
	v_pk_mul_f32 v[164:165], v[4:5], v[164:165]                // 00000000E60C: D3B140A4 18034904
	v_pk_mul_f32 v[94:95], v[4:5], v[94:95]                    // 00000000E614: D3B1405E 1802BD04
	v_pk_mul_f32 v[166:167], v[4:5], v[166:167]                // 00000000E61C: D3B140A6 18034D04
	v_pk_mul_f32 v[128:129], v[4:5], v[128:129]                // 00000000E624: D3B14080 18030104
	v_pk_mul_f32 v[200:201], v[4:5], v[200:201]                // 00000000E62C: D3B140C8 18039104
	v_pk_mul_f32 v[130:131], v[4:5], v[130:131]                // 00000000E634: D3B14082 18030504
	v_pk_mul_f32 v[202:203], v[4:5], v[202:203]                // 00000000E63C: D3B140CA 18039504
	v_mul_f32_e32 v41, v41, v234                               // 00000000E644: 0A53D529
	v_mov_b32_e32 v4, v41                                      // 00000000E648: 7E080329
	v_mov_b32_e32 v5, v4                                       // 00000000E64C: 7E0A0304
	v_pk_mul_f32 v[96:97], v[4:5], v[96:97]                    // 00000000E650: D3B14060 1802C104
	v_pk_mul_f32 v[168:169], v[4:5], v[168:169]                // 00000000E658: D3B140A8 18035104
	v_pk_mul_f32 v[98:99], v[4:5], v[98:99]                    // 00000000E660: D3B14062 1802C504
	v_pk_mul_f32 v[170:171], v[4:5], v[170:171]                // 00000000E668: D3B140AA 18035504
	v_pk_mul_f32 v[132:133], v[4:5], v[132:133]                // 00000000E670: D3B14084 18030904
	v_pk_mul_f32 v[204:205], v[4:5], v[204:205]                // 00000000E678: D3B140CC 18039904
	v_pk_mul_f32 v[134:135], v[4:5], v[134:135]                // 00000000E680: D3B14086 18030D04
	v_pk_mul_f32 v[206:207], v[4:5], v[206:207]                // 00000000E688: D3B140CE 18039D04
	v_mul_f32_e32 v42, v42, v235                               // 00000000E690: 0A55D72A
	v_mov_b32_e32 v4, v42                                      // 00000000E694: 7E08032A
	v_mov_b32_e32 v5, v4                                       // 00000000E698: 7E0A0304
	v_pk_mul_f32 v[100:101], v[4:5], v[100:101]                // 00000000E69C: D3B14064 1802C904
	v_pk_mul_f32 v[172:173], v[4:5], v[172:173]                // 00000000E6A4: D3B140AC 18035904
	v_pk_mul_f32 v[102:103], v[4:5], v[102:103]                // 00000000E6AC: D3B14066 1802CD04
	v_pk_mul_f32 v[174:175], v[4:5], v[174:175]                // 00000000E6B4: D3B140AE 18035D04
	v_pk_mul_f32 v[136:137], v[4:5], v[136:137]                // 00000000E6BC: D3B14088 18031104
	v_pk_mul_f32 v[208:209], v[4:5], v[208:209]                // 00000000E6C4: D3B140D0 1803A104
	v_pk_mul_f32 v[138:139], v[4:5], v[138:139]                // 00000000E6CC: D3B1408A 18031504
	v_pk_mul_f32 v[210:211], v[4:5], v[210:211]                // 00000000E6D4: D3B140D2 1803A504
	v_mul_f32_e32 v43, v43, v236                               // 00000000E6DC: 0A57D92B
	v_mov_b32_e32 v4, v43                                      // 00000000E6E0: 7E08032B
	v_mov_b32_e32 v5, v4                                       // 00000000E6E4: 7E0A0304
	v_pk_mul_f32 v[104:105], v[4:5], v[104:105]                // 00000000E6E8: D3B14068 1802D104
	v_pk_mul_f32 v[176:177], v[4:5], v[176:177]                // 00000000E6F0: D3B140B0 18036104
	v_pk_mul_f32 v[106:107], v[4:5], v[106:107]                // 00000000E6F8: D3B1406A 1802D504
	v_pk_mul_f32 v[178:179], v[4:5], v[178:179]                // 00000000E700: D3B140B2 18036504
	v_pk_mul_f32 v[140:141], v[4:5], v[140:141]                // 00000000E708: D3B1408C 18031904
	v_pk_mul_f32 v[212:213], v[4:5], v[212:213]                // 00000000E710: D3B140D4 1803A904
	v_pk_mul_f32 v[142:143], v[4:5], v[142:143]                // 00000000E718: D3B1408E 18031D04
	v_pk_mul_f32 v[214:215], v[4:5], v[214:215]                // 00000000E720: D3B140D6 1803AD04
	v_mul_f32_e32 v44, v44, v237                               // 00000000E728: 0A59DB2C
	v_mov_b32_e32 v4, v44                                      // 00000000E72C: 7E08032C
	v_mov_b32_e32 v5, v4                                       // 00000000E730: 7E0A0304
	v_pk_mul_f32 v[108:109], v[4:5], v[108:109]                // 00000000E734: D3B1406C 1802D904
	v_pk_mul_f32 v[180:181], v[4:5], v[180:181]                // 00000000E73C: D3B140B4 18036904
	v_pk_mul_f32 v[110:111], v[4:5], v[110:111]                // 00000000E744: D3B1406E 1802DD04
	v_pk_mul_f32 v[182:183], v[4:5], v[182:183]                // 00000000E74C: D3B140B6 18036D04
	v_pk_mul_f32 v[144:145], v[4:5], v[144:145]                // 00000000E754: D3B14090 18032104
	v_pk_mul_f32 v[216:217], v[4:5], v[216:217]                // 00000000E75C: D3B140D8 1803B104
	v_pk_mul_f32 v[146:147], v[4:5], v[146:147]                // 00000000E764: D3B14092 18032504
	v_pk_mul_f32 v[218:219], v[4:5], v[218:219]                // 00000000E76C: D3B140DA 1803B504
	v_mul_f32_e32 v45, v45, v238                               // 00000000E774: 0A5BDD2D
	v_mov_b32_e32 v4, v45                                      // 00000000E778: 7E08032D
	v_mov_b32_e32 v5, v4                                       // 00000000E77C: 7E0A0304
	v_pk_mul_f32 v[112:113], v[4:5], v[112:113]                // 00000000E780: D3B14070 1802E104
	v_pk_mul_f32 v[184:185], v[4:5], v[184:185]                // 00000000E788: D3B140B8 18037104
	v_pk_mul_f32 v[114:115], v[4:5], v[114:115]                // 00000000E790: D3B14072 1802E504
	v_pk_mul_f32 v[186:187], v[4:5], v[186:187]                // 00000000E798: D3B140BA 18037504
	v_pk_mul_f32 v[148:149], v[4:5], v[148:149]                // 00000000E7A0: D3B14094 18032904
	v_pk_mul_f32 v[220:221], v[4:5], v[220:221]                // 00000000E7A8: D3B140DC 1803B904
	v_pk_mul_f32 v[150:151], v[4:5], v[150:151]                // 00000000E7B0: D3B14096 18032D04
	v_pk_mul_f32 v[222:223], v[4:5], v[222:223]                // 00000000E7B8: D3B140DE 1803BD04
	v_mul_f32_e32 v46, v46, v239                               // 00000000E7C0: 0A5DDF2E
	v_mov_b32_e32 v4, v46                                      // 00000000E7C4: 7E08032E
	v_mov_b32_e32 v5, v4                                       // 00000000E7C8: 7E0A0304
	v_pk_mul_f32 v[116:117], v[4:5], v[116:117]                // 00000000E7CC: D3B14074 1802E904
	v_pk_mul_f32 v[188:189], v[4:5], v[188:189]                // 00000000E7D4: D3B140BC 18037904
	v_pk_mul_f32 v[118:119], v[4:5], v[118:119]                // 00000000E7DC: D3B14076 1802ED04
	v_pk_mul_f32 v[190:191], v[4:5], v[190:191]                // 00000000E7E4: D3B140BE 18037D04
	v_pk_mul_f32 v[152:153], v[4:5], v[152:153]                // 00000000E7EC: D3B14098 18033104
	v_pk_mul_f32 v[224:225], v[4:5], v[224:225]                // 00000000E7F4: D3B140E0 1803C104
	v_pk_mul_f32 v[154:155], v[4:5], v[154:155]                // 00000000E7FC: D3B1409A 18033504
	v_pk_mul_f32 v[226:227], v[4:5], v[226:227]                // 00000000E804: D3B140E2 1803C504
	v_mul_f32_e32 v47, v47, v240                               // 00000000E80C: 0A5FE12F
	v_mov_b32_e32 v4, v47                                      // 00000000E810: 7E08032F
	v_mov_b32_e32 v5, v4                                       // 00000000E814: 7E0A0304
	v_pk_mul_f32 v[120:121], v[4:5], v[120:121]                // 00000000E818: D3B14078 1802F104
	v_pk_mul_f32 v[192:193], v[4:5], v[192:193]                // 00000000E820: D3B140C0 18038104
	v_pk_mul_f32 v[122:123], v[4:5], v[122:123]                // 00000000E828: D3B1407A 1802F504
	v_pk_mul_f32 v[194:195], v[4:5], v[194:195]                // 00000000E830: D3B140C2 18038504
	v_pk_mul_f32 v[156:157], v[4:5], v[156:157]                // 00000000E838: D3B1409C 18033904
	v_pk_mul_f32 v[228:229], v[4:5], v[228:229]                // 00000000E840: D3B140E4 1803C904
	v_pk_mul_f32 v[158:159], v[4:5], v[158:159]                // 00000000E848: D3B1409E 18033D04
	v_pk_mul_f32 v[230:231], v[4:5], v[230:231]                // 00000000E850: D3B140E6 1803CD04
	s_cmp_eq_u32 s88, 0                                        // 00000000E858: BF068058
	s_cbranch_scc0 label_3A24                                  // 00000000E85C: BF840A89
	s_cmp_eq_u32 s89, 0                                        // 00000000E860: BF068059
	s_cbranch_scc1 label_3272                                  // 00000000E864: BF8502D5
	v_mov_b32_e32 v8, v1                                       // 00000000E868: 7E100301
	v_mov_b32_e32 v9, v1                                       // 00000000E86C: 7E120301
	s_mov_b32 s60, s6                                          // 00000000E870: BEBC0006
	s_mov_b32 s61, s6                                          // 00000000E874: BEBD0006
	v_pk_mul_f32 v[4:5], v[88:89], v[88:89]                    // 00000000E878: D3B14004 1802B158
	v_pk_mul_f32 v[6:7], v[90:91], v[90:91]                    // 00000000E880: D3B14006 1802B55A
	v_pk_fma_f32 v[4:5], v[4:5], s[78:79], v[8:9]              // 00000000E888: D3B04004 1C209D04
	v_pk_fma_f32 v[6:7], v[6:7], s[78:79], v[8:9]              // 00000000E890: D3B04006 1C209D06
	v_pk_mul_f32 v[4:5], v[4:5], v[88:89]                      // 00000000E898: D3B14004 1802B104
	v_pk_mul_f32 v[6:7], v[6:7], v[90:91]                      // 00000000E8A0: D3B14006 1802B506
	v_pk_mul_f32 v[4:5], v[4:5], s[60:61]                      // 00000000E8A8: D3B14004 18007904
	v_pk_mul_f32 v[6:7], v[6:7], s[60:61]                      // 00000000E8B0: D3B14006 18007906
	v_exp_f32_e32 v4, v4                                       // 00000000E8B8: 7E084104
	v_exp_f32_e32 v5, v5                                       // 00000000E8BC: 7E0A4105
	v_exp_f32_e32 v6, v6                                       // 00000000E8C0: 7E0C4106
	v_exp_f32_e32 v7, v7                                       // 00000000E8C4: 7E0E4107
	v_add_f32_e64 v4, v4, 1.0                                  // 00000000E8C8: D1010004 0001E504
	v_add_f32_e64 v5, v5, 1.0                                  // 00000000E8D0: D1010005 0001E505
	v_add_f32_e64 v6, v6, 1.0                                  // 00000000E8D8: D1010006 0001E506
	v_add_f32_e64 v7, v7, 1.0                                  // 00000000E8E0: D1010007 0001E507
	v_rcp_f32_e32 v4, v4                                       // 00000000E8E8: 7E084504
	v_rcp_f32_e32 v5, v5                                       // 00000000E8EC: 7E0A4505
	v_rcp_f32_e32 v6, v6                                       // 00000000E8F0: 7E0C4506
	v_rcp_f32_e32 v7, v7                                       // 00000000E8F4: 7E0E4507
	v_mul_f32_e32 v88, v88, v4                                 // 00000000E8F8: 0AB00958
	v_mul_f32_e32 v89, v89, v5                                 // 00000000E8FC: 0AB20B59
	v_mul_f32_e32 v90, v90, v6                                 // 00000000E900: 0AB40D5A
	v_mul_f32_e32 v91, v91, v7                                 // 00000000E904: 0AB60F5B
	v_mul_f32_e32 v88, v88, v160                               // 00000000E908: 0AB14158
	v_mul_f32_e32 v89, v89, v161                               // 00000000E90C: 0AB34359
	v_mul_f32_e32 v90, v90, v162                               // 00000000E910: 0AB5455A
	v_mul_f32_e32 v91, v91, v163                               // 00000000E914: 0AB7475B
	v_pk_mul_f32 v[4:5], v[92:93], v[92:93]                    // 00000000E918: D3B14004 1802B95C
	v_pk_mul_f32 v[6:7], v[94:95], v[94:95]                    // 00000000E920: D3B14006 1802BD5E
	v_pk_fma_f32 v[4:5], v[4:5], s[78:79], v[8:9]              // 00000000E928: D3B04004 1C209D04
	v_pk_fma_f32 v[6:7], v[6:7], s[78:79], v[8:9]              // 00000000E930: D3B04006 1C209D06
	v_pk_mul_f32 v[4:5], v[4:5], v[92:93]                      // 00000000E938: D3B14004 1802B904
	v_pk_mul_f32 v[6:7], v[6:7], v[94:95]                      // 00000000E940: D3B14006 1802BD06
	v_pk_mul_f32 v[4:5], v[4:5], s[60:61]                      // 00000000E948: D3B14004 18007904
	v_pk_mul_f32 v[6:7], v[6:7], s[60:61]                      // 00000000E950: D3B14006 18007906
	v_exp_f32_e32 v4, v4                                       // 00000000E958: 7E084104
	v_exp_f32_e32 v5, v5                                       // 00000000E95C: 7E0A4105
	v_exp_f32_e32 v6, v6                                       // 00000000E960: 7E0C4106
	v_exp_f32_e32 v7, v7                                       // 00000000E964: 7E0E4107
	v_add_f32_e64 v4, v4, 1.0                                  // 00000000E968: D1010004 0001E504
	v_add_f32_e64 v5, v5, 1.0                                  // 00000000E970: D1010005 0001E505
	v_add_f32_e64 v6, v6, 1.0                                  // 00000000E978: D1010006 0001E506
	v_add_f32_e64 v7, v7, 1.0                                  // 00000000E980: D1010007 0001E507
	v_rcp_f32_e32 v4, v4                                       // 00000000E988: 7E084504
	v_rcp_f32_e32 v5, v5                                       // 00000000E98C: 7E0A4505
	v_rcp_f32_e32 v6, v6                                       // 00000000E990: 7E0C4506
	v_rcp_f32_e32 v7, v7                                       // 00000000E994: 7E0E4507
	v_mul_f32_e32 v92, v92, v4                                 // 00000000E998: 0AB8095C
	v_mul_f32_e32 v93, v93, v5                                 // 00000000E99C: 0ABA0B5D
	v_mul_f32_e32 v94, v94, v6                                 // 00000000E9A0: 0ABC0D5E
	v_mul_f32_e32 v95, v95, v7                                 // 00000000E9A4: 0ABE0F5F
	v_mul_f32_e32 v92, v92, v164                               // 00000000E9A8: 0AB9495C
	v_mul_f32_e32 v93, v93, v165                               // 00000000E9AC: 0ABB4B5D
	v_mul_f32_e32 v94, v94, v166                               // 00000000E9B0: 0ABD4D5E
	v_mul_f32_e32 v95, v95, v167                               // 00000000E9B4: 0ABF4F5F
	v_pk_mul_f32 v[4:5], v[96:97], v[96:97]                    // 00000000E9B8: D3B14004 1802C160
	v_pk_mul_f32 v[6:7], v[98:99], v[98:99]                    // 00000000E9C0: D3B14006 1802C562
	v_pk_fma_f32 v[4:5], v[4:5], s[78:79], v[8:9]              // 00000000E9C8: D3B04004 1C209D04
	v_pk_fma_f32 v[6:7], v[6:7], s[78:79], v[8:9]              // 00000000E9D0: D3B04006 1C209D06
	v_pk_mul_f32 v[4:5], v[4:5], v[96:97]                      // 00000000E9D8: D3B14004 1802C104
	v_pk_mul_f32 v[6:7], v[6:7], v[98:99]                      // 00000000E9E0: D3B14006 1802C506
	v_pk_mul_f32 v[4:5], v[4:5], s[60:61]                      // 00000000E9E8: D3B14004 18007904
	v_pk_mul_f32 v[6:7], v[6:7], s[60:61]                      // 00000000E9F0: D3B14006 18007906
	v_exp_f32_e32 v4, v4                                       // 00000000E9F8: 7E084104
	v_exp_f32_e32 v5, v5                                       // 00000000E9FC: 7E0A4105
	v_exp_f32_e32 v6, v6                                       // 00000000EA00: 7E0C4106
	v_exp_f32_e32 v7, v7                                       // 00000000EA04: 7E0E4107
	v_add_f32_e64 v4, v4, 1.0                                  // 00000000EA08: D1010004 0001E504
	v_add_f32_e64 v5, v5, 1.0                                  // 00000000EA10: D1010005 0001E505
	v_add_f32_e64 v6, v6, 1.0                                  // 00000000EA18: D1010006 0001E506
	v_add_f32_e64 v7, v7, 1.0                                  // 00000000EA20: D1010007 0001E507
	v_rcp_f32_e32 v4, v4                                       // 00000000EA28: 7E084504
	v_rcp_f32_e32 v5, v5                                       // 00000000EA2C: 7E0A4505
	v_rcp_f32_e32 v6, v6                                       // 00000000EA30: 7E0C4506
	v_rcp_f32_e32 v7, v7                                       // 00000000EA34: 7E0E4507
	v_mul_f32_e32 v96, v96, v4                                 // 00000000EA38: 0AC00960
	v_mul_f32_e32 v97, v97, v5                                 // 00000000EA3C: 0AC20B61
	v_mul_f32_e32 v98, v98, v6                                 // 00000000EA40: 0AC40D62
	v_mul_f32_e32 v99, v99, v7                                 // 00000000EA44: 0AC60F63
	v_mul_f32_e32 v96, v96, v168                               // 00000000EA48: 0AC15160
	v_mul_f32_e32 v97, v97, v169                               // 00000000EA4C: 0AC35361
	v_mul_f32_e32 v98, v98, v170                               // 00000000EA50: 0AC55562
	v_mul_f32_e32 v99, v99, v171                               // 00000000EA54: 0AC75763
	v_pk_mul_f32 v[4:5], v[100:101], v[100:101]                // 00000000EA58: D3B14004 1802C964
	v_pk_mul_f32 v[6:7], v[102:103], v[102:103]                // 00000000EA60: D3B14006 1802CD66
	v_pk_fma_f32 v[4:5], v[4:5], s[78:79], v[8:9]              // 00000000EA68: D3B04004 1C209D04
	v_pk_fma_f32 v[6:7], v[6:7], s[78:79], v[8:9]              // 00000000EA70: D3B04006 1C209D06
	v_pk_mul_f32 v[4:5], v[4:5], v[100:101]                    // 00000000EA78: D3B14004 1802C904
	v_pk_mul_f32 v[6:7], v[6:7], v[102:103]                    // 00000000EA80: D3B14006 1802CD06
	v_pk_mul_f32 v[4:5], v[4:5], s[60:61]                      // 00000000EA88: D3B14004 18007904
	v_pk_mul_f32 v[6:7], v[6:7], s[60:61]                      // 00000000EA90: D3B14006 18007906
	v_exp_f32_e32 v4, v4                                       // 00000000EA98: 7E084104
	v_exp_f32_e32 v5, v5                                       // 00000000EA9C: 7E0A4105
	v_exp_f32_e32 v6, v6                                       // 00000000EAA0: 7E0C4106
	v_exp_f32_e32 v7, v7                                       // 00000000EAA4: 7E0E4107
	v_add_f32_e64 v4, v4, 1.0                                  // 00000000EAA8: D1010004 0001E504
	v_add_f32_e64 v5, v5, 1.0                                  // 00000000EAB0: D1010005 0001E505
	v_add_f32_e64 v6, v6, 1.0                                  // 00000000EAB8: D1010006 0001E506
	v_add_f32_e64 v7, v7, 1.0                                  // 00000000EAC0: D1010007 0001E507
	v_rcp_f32_e32 v4, v4                                       // 00000000EAC8: 7E084504
	v_rcp_f32_e32 v5, v5                                       // 00000000EACC: 7E0A4505
	v_rcp_f32_e32 v6, v6                                       // 00000000EAD0: 7E0C4506
	v_rcp_f32_e32 v7, v7                                       // 00000000EAD4: 7E0E4507
	v_mul_f32_e32 v100, v100, v4                               // 00000000EAD8: 0AC80964
	v_mul_f32_e32 v101, v101, v5                               // 00000000EADC: 0ACA0B65
	v_mul_f32_e32 v102, v102, v6                               // 00000000EAE0: 0ACC0D66
	v_mul_f32_e32 v103, v103, v7                               // 00000000EAE4: 0ACE0F67
	v_mul_f32_e32 v100, v100, v172                             // 00000000EAE8: 0AC95964
	v_mul_f32_e32 v101, v101, v173                             // 00000000EAEC: 0ACB5B65
	v_mul_f32_e32 v102, v102, v174                             // 00000000EAF0: 0ACD5D66
	v_mul_f32_e32 v103, v103, v175                             // 00000000EAF4: 0ACF5F67
	v_pk_mul_f32 v[4:5], v[104:105], v[104:105]                // 00000000EAF8: D3B14004 1802D168
	v_pk_mul_f32 v[6:7], v[106:107], v[106:107]                // 00000000EB00: D3B14006 1802D56A
	v_pk_fma_f32 v[4:5], v[4:5], s[78:79], v[8:9]              // 00000000EB08: D3B04004 1C209D04
	v_pk_fma_f32 v[6:7], v[6:7], s[78:79], v[8:9]              // 00000000EB10: D3B04006 1C209D06
	v_pk_mul_f32 v[4:5], v[4:5], v[104:105]                    // 00000000EB18: D3B14004 1802D104
	v_pk_mul_f32 v[6:7], v[6:7], v[106:107]                    // 00000000EB20: D3B14006 1802D506
	v_pk_mul_f32 v[4:5], v[4:5], s[60:61]                      // 00000000EB28: D3B14004 18007904
	v_pk_mul_f32 v[6:7], v[6:7], s[60:61]                      // 00000000EB30: D3B14006 18007906
	v_exp_f32_e32 v4, v4                                       // 00000000EB38: 7E084104
	v_exp_f32_e32 v5, v5                                       // 00000000EB3C: 7E0A4105
	v_exp_f32_e32 v6, v6                                       // 00000000EB40: 7E0C4106
	v_exp_f32_e32 v7, v7                                       // 00000000EB44: 7E0E4107
	v_add_f32_e64 v4, v4, 1.0                                  // 00000000EB48: D1010004 0001E504
	v_add_f32_e64 v5, v5, 1.0                                  // 00000000EB50: D1010005 0001E505
	v_add_f32_e64 v6, v6, 1.0                                  // 00000000EB58: D1010006 0001E506
	v_add_f32_e64 v7, v7, 1.0                                  // 00000000EB60: D1010007 0001E507
	v_rcp_f32_e32 v4, v4                                       // 00000000EB68: 7E084504
	v_rcp_f32_e32 v5, v5                                       // 00000000EB6C: 7E0A4505
	v_rcp_f32_e32 v6, v6                                       // 00000000EB70: 7E0C4506
	v_rcp_f32_e32 v7, v7                                       // 00000000EB74: 7E0E4507
	v_mul_f32_e32 v104, v104, v4                               // 00000000EB78: 0AD00968
	v_mul_f32_e32 v105, v105, v5                               // 00000000EB7C: 0AD20B69
	v_mul_f32_e32 v106, v106, v6                               // 00000000EB80: 0AD40D6A
	v_mul_f32_e32 v107, v107, v7                               // 00000000EB84: 0AD60F6B
	v_mul_f32_e32 v104, v104, v176                             // 00000000EB88: 0AD16168
	v_mul_f32_e32 v105, v105, v177                             // 00000000EB8C: 0AD36369
	v_mul_f32_e32 v106, v106, v178                             // 00000000EB90: 0AD5656A
	v_mul_f32_e32 v107, v107, v179                             // 00000000EB94: 0AD7676B
	v_pk_mul_f32 v[4:5], v[108:109], v[108:109]                // 00000000EB98: D3B14004 1802D96C
	v_pk_mul_f32 v[6:7], v[110:111], v[110:111]                // 00000000EBA0: D3B14006 1802DD6E
	v_pk_fma_f32 v[4:5], v[4:5], s[78:79], v[8:9]              // 00000000EBA8: D3B04004 1C209D04
	v_pk_fma_f32 v[6:7], v[6:7], s[78:79], v[8:9]              // 00000000EBB0: D3B04006 1C209D06
	v_pk_mul_f32 v[4:5], v[4:5], v[108:109]                    // 00000000EBB8: D3B14004 1802D904
	v_pk_mul_f32 v[6:7], v[6:7], v[110:111]                    // 00000000EBC0: D3B14006 1802DD06
	v_pk_mul_f32 v[4:5], v[4:5], s[60:61]                      // 00000000EBC8: D3B14004 18007904
	v_pk_mul_f32 v[6:7], v[6:7], s[60:61]                      // 00000000EBD0: D3B14006 18007906
	v_exp_f32_e32 v4, v4                                       // 00000000EBD8: 7E084104
	v_exp_f32_e32 v5, v5                                       // 00000000EBDC: 7E0A4105
	v_exp_f32_e32 v6, v6                                       // 00000000EBE0: 7E0C4106
	v_exp_f32_e32 v7, v7                                       // 00000000EBE4: 7E0E4107
	v_add_f32_e64 v4, v4, 1.0                                  // 00000000EBE8: D1010004 0001E504
	v_add_f32_e64 v5, v5, 1.0                                  // 00000000EBF0: D1010005 0001E505
	v_add_f32_e64 v6, v6, 1.0                                  // 00000000EBF8: D1010006 0001E506
	v_add_f32_e64 v7, v7, 1.0                                  // 00000000EC00: D1010007 0001E507
	v_rcp_f32_e32 v4, v4                                       // 00000000EC08: 7E084504
	v_rcp_f32_e32 v5, v5                                       // 00000000EC0C: 7E0A4505
	v_rcp_f32_e32 v6, v6                                       // 00000000EC10: 7E0C4506
	v_rcp_f32_e32 v7, v7                                       // 00000000EC14: 7E0E4507
	v_mul_f32_e32 v108, v108, v4                               // 00000000EC18: 0AD8096C
	v_mul_f32_e32 v109, v109, v5                               // 00000000EC1C: 0ADA0B6D
	v_mul_f32_e32 v110, v110, v6                               // 00000000EC20: 0ADC0D6E
	v_mul_f32_e32 v111, v111, v7                               // 00000000EC24: 0ADE0F6F
	v_mul_f32_e32 v108, v108, v180                             // 00000000EC28: 0AD9696C
	v_mul_f32_e32 v109, v109, v181                             // 00000000EC2C: 0ADB6B6D
	v_mul_f32_e32 v110, v110, v182                             // 00000000EC30: 0ADD6D6E
	v_mul_f32_e32 v111, v111, v183                             // 00000000EC34: 0ADF6F6F
	v_pk_mul_f32 v[4:5], v[112:113], v[112:113]                // 00000000EC38: D3B14004 1802E170
	v_pk_mul_f32 v[6:7], v[114:115], v[114:115]                // 00000000EC40: D3B14006 1802E572
	v_pk_fma_f32 v[4:5], v[4:5], s[78:79], v[8:9]              // 00000000EC48: D3B04004 1C209D04
	v_pk_fma_f32 v[6:7], v[6:7], s[78:79], v[8:9]              // 00000000EC50: D3B04006 1C209D06
	v_pk_mul_f32 v[4:5], v[4:5], v[112:113]                    // 00000000EC58: D3B14004 1802E104
	v_pk_mul_f32 v[6:7], v[6:7], v[114:115]                    // 00000000EC60: D3B14006 1802E506
	v_pk_mul_f32 v[4:5], v[4:5], s[60:61]                      // 00000000EC68: D3B14004 18007904
	v_pk_mul_f32 v[6:7], v[6:7], s[60:61]                      // 00000000EC70: D3B14006 18007906
	v_exp_f32_e32 v4, v4                                       // 00000000EC78: 7E084104
	v_exp_f32_e32 v5, v5                                       // 00000000EC7C: 7E0A4105
	v_exp_f32_e32 v6, v6                                       // 00000000EC80: 7E0C4106
	v_exp_f32_e32 v7, v7                                       // 00000000EC84: 7E0E4107
	v_add_f32_e64 v4, v4, 1.0                                  // 00000000EC88: D1010004 0001E504
	v_add_f32_e64 v5, v5, 1.0                                  // 00000000EC90: D1010005 0001E505
	v_add_f32_e64 v6, v6, 1.0                                  // 00000000EC98: D1010006 0001E506
	v_add_f32_e64 v7, v7, 1.0                                  // 00000000ECA0: D1010007 0001E507
	v_rcp_f32_e32 v4, v4                                       // 00000000ECA8: 7E084504
	v_rcp_f32_e32 v5, v5                                       // 00000000ECAC: 7E0A4505
	v_rcp_f32_e32 v6, v6                                       // 00000000ECB0: 7E0C4506
	v_rcp_f32_e32 v7, v7                                       // 00000000ECB4: 7E0E4507
	v_mul_f32_e32 v112, v112, v4                               // 00000000ECB8: 0AE00970
	v_mul_f32_e32 v113, v113, v5                               // 00000000ECBC: 0AE20B71
	v_mul_f32_e32 v114, v114, v6                               // 00000000ECC0: 0AE40D72
	v_mul_f32_e32 v115, v115, v7                               // 00000000ECC4: 0AE60F73
	v_mul_f32_e32 v112, v112, v184                             // 00000000ECC8: 0AE17170
	v_mul_f32_e32 v113, v113, v185                             // 00000000ECCC: 0AE37371
	v_mul_f32_e32 v114, v114, v186                             // 00000000ECD0: 0AE57572
	v_mul_f32_e32 v115, v115, v187                             // 00000000ECD4: 0AE77773
	v_pk_mul_f32 v[4:5], v[116:117], v[116:117]                // 00000000ECD8: D3B14004 1802E974
	v_pk_mul_f32 v[6:7], v[118:119], v[118:119]                // 00000000ECE0: D3B14006 1802ED76
	v_pk_fma_f32 v[4:5], v[4:5], s[78:79], v[8:9]              // 00000000ECE8: D3B04004 1C209D04
	v_pk_fma_f32 v[6:7], v[6:7], s[78:79], v[8:9]              // 00000000ECF0: D3B04006 1C209D06
	v_pk_mul_f32 v[4:5], v[4:5], v[116:117]                    // 00000000ECF8: D3B14004 1802E904
	v_pk_mul_f32 v[6:7], v[6:7], v[118:119]                    // 00000000ED00: D3B14006 1802ED06
	v_pk_mul_f32 v[4:5], v[4:5], s[60:61]                      // 00000000ED08: D3B14004 18007904
	v_pk_mul_f32 v[6:7], v[6:7], s[60:61]                      // 00000000ED10: D3B14006 18007906
	v_exp_f32_e32 v4, v4                                       // 00000000ED18: 7E084104
	v_exp_f32_e32 v5, v5                                       // 00000000ED1C: 7E0A4105
	v_exp_f32_e32 v6, v6                                       // 00000000ED20: 7E0C4106
	v_exp_f32_e32 v7, v7                                       // 00000000ED24: 7E0E4107
	v_add_f32_e64 v4, v4, 1.0                                  // 00000000ED28: D1010004 0001E504
	v_add_f32_e64 v5, v5, 1.0                                  // 00000000ED30: D1010005 0001E505
	v_add_f32_e64 v6, v6, 1.0                                  // 00000000ED38: D1010006 0001E506
	v_add_f32_e64 v7, v7, 1.0                                  // 00000000ED40: D1010007 0001E507
	v_rcp_f32_e32 v4, v4                                       // 00000000ED48: 7E084504
	v_rcp_f32_e32 v5, v5                                       // 00000000ED4C: 7E0A4505
	v_rcp_f32_e32 v6, v6                                       // 00000000ED50: 7E0C4506
	v_rcp_f32_e32 v7, v7                                       // 00000000ED54: 7E0E4507
	v_mul_f32_e32 v116, v116, v4                               // 00000000ED58: 0AE80974
	v_mul_f32_e32 v117, v117, v5                               // 00000000ED5C: 0AEA0B75
	v_mul_f32_e32 v118, v118, v6                               // 00000000ED60: 0AEC0D76
	v_mul_f32_e32 v119, v119, v7                               // 00000000ED64: 0AEE0F77
	v_mul_f32_e32 v116, v116, v188                             // 00000000ED68: 0AE97974
	v_mul_f32_e32 v117, v117, v189                             // 00000000ED6C: 0AEB7B75
	v_mul_f32_e32 v118, v118, v190                             // 00000000ED70: 0AED7D76
	v_mul_f32_e32 v119, v119, v191                             // 00000000ED74: 0AEF7F77
	v_pk_mul_f32 v[4:5], v[120:121], v[120:121]                // 00000000ED78: D3B14004 1802F178
	v_pk_mul_f32 v[6:7], v[122:123], v[122:123]                // 00000000ED80: D3B14006 1802F57A
	v_pk_fma_f32 v[4:5], v[4:5], s[78:79], v[8:9]              // 00000000ED88: D3B04004 1C209D04
	v_pk_fma_f32 v[6:7], v[6:7], s[78:79], v[8:9]              // 00000000ED90: D3B04006 1C209D06
	v_pk_mul_f32 v[4:5], v[4:5], v[120:121]                    // 00000000ED98: D3B14004 1802F104
	v_pk_mul_f32 v[6:7], v[6:7], v[122:123]                    // 00000000EDA0: D3B14006 1802F506
	v_pk_mul_f32 v[4:5], v[4:5], s[60:61]                      // 00000000EDA8: D3B14004 18007904
	v_pk_mul_f32 v[6:7], v[6:7], s[60:61]                      // 00000000EDB0: D3B14006 18007906
	v_exp_f32_e32 v4, v4                                       // 00000000EDB8: 7E084104
	v_exp_f32_e32 v5, v5                                       // 00000000EDBC: 7E0A4105
	v_exp_f32_e32 v6, v6                                       // 00000000EDC0: 7E0C4106
	v_exp_f32_e32 v7, v7                                       // 00000000EDC4: 7E0E4107
	v_add_f32_e64 v4, v4, 1.0                                  // 00000000EDC8: D1010004 0001E504
	v_add_f32_e64 v5, v5, 1.0                                  // 00000000EDD0: D1010005 0001E505
	v_add_f32_e64 v6, v6, 1.0                                  // 00000000EDD8: D1010006 0001E506
	v_add_f32_e64 v7, v7, 1.0                                  // 00000000EDE0: D1010007 0001E507
	v_rcp_f32_e32 v4, v4                                       // 00000000EDE8: 7E084504
	v_rcp_f32_e32 v5, v5                                       // 00000000EDEC: 7E0A4505
	v_rcp_f32_e32 v6, v6                                       // 00000000EDF0: 7E0C4506
	v_rcp_f32_e32 v7, v7                                       // 00000000EDF4: 7E0E4507
	v_mul_f32_e32 v120, v120, v4                               // 00000000EDF8: 0AF00978
	v_mul_f32_e32 v121, v121, v5                               // 00000000EDFC: 0AF20B79
	v_mul_f32_e32 v122, v122, v6                               // 00000000EE00: 0AF40D7A
	v_mul_f32_e32 v123, v123, v7                               // 00000000EE04: 0AF60F7B
	v_mul_f32_e32 v120, v120, v192                             // 00000000EE08: 0AF18178
	v_mul_f32_e32 v121, v121, v193                             // 00000000EE0C: 0AF38379
	v_mul_f32_e32 v122, v122, v194                             // 00000000EE10: 0AF5857A
	v_mul_f32_e32 v123, v123, v195                             // 00000000EE14: 0AF7877B
	v_pk_mul_f32 v[4:5], v[124:125], v[124:125]                // 00000000EE18: D3B14004 1802F97C
	v_pk_mul_f32 v[6:7], v[126:127], v[126:127]                // 00000000EE20: D3B14006 1802FD7E
	v_pk_fma_f32 v[4:5], v[4:5], s[78:79], v[8:9]              // 00000000EE28: D3B04004 1C209D04
	v_pk_fma_f32 v[6:7], v[6:7], s[78:79], v[8:9]              // 00000000EE30: D3B04006 1C209D06
	v_pk_mul_f32 v[4:5], v[4:5], v[124:125]                    // 00000000EE38: D3B14004 1802F904
	v_pk_mul_f32 v[6:7], v[6:7], v[126:127]                    // 00000000EE40: D3B14006 1802FD06
	v_pk_mul_f32 v[4:5], v[4:5], s[60:61]                      // 00000000EE48: D3B14004 18007904
	v_pk_mul_f32 v[6:7], v[6:7], s[60:61]                      // 00000000EE50: D3B14006 18007906
	v_exp_f32_e32 v4, v4                                       // 00000000EE58: 7E084104
	v_exp_f32_e32 v5, v5                                       // 00000000EE5C: 7E0A4105
	v_exp_f32_e32 v6, v6                                       // 00000000EE60: 7E0C4106
	v_exp_f32_e32 v7, v7                                       // 00000000EE64: 7E0E4107
	v_add_f32_e64 v4, v4, 1.0                                  // 00000000EE68: D1010004 0001E504
	v_add_f32_e64 v5, v5, 1.0                                  // 00000000EE70: D1010005 0001E505
	v_add_f32_e64 v6, v6, 1.0                                  // 00000000EE78: D1010006 0001E506
	v_add_f32_e64 v7, v7, 1.0                                  // 00000000EE80: D1010007 0001E507
	v_rcp_f32_e32 v4, v4                                       // 00000000EE88: 7E084504
	v_rcp_f32_e32 v5, v5                                       // 00000000EE8C: 7E0A4505
	v_rcp_f32_e32 v6, v6                                       // 00000000EE90: 7E0C4506
	v_rcp_f32_e32 v7, v7                                       // 00000000EE94: 7E0E4507
	v_mul_f32_e32 v124, v124, v4                               // 00000000EE98: 0AF8097C
	v_mul_f32_e32 v125, v125, v5                               // 00000000EE9C: 0AFA0B7D
	v_mul_f32_e32 v126, v126, v6                               // 00000000EEA0: 0AFC0D7E
	v_mul_f32_e32 v127, v127, v7                               // 00000000EEA4: 0AFE0F7F
	v_mul_f32_e32 v124, v124, v196                             // 00000000EEA8: 0AF9897C
	v_mul_f32_e32 v125, v125, v197                             // 00000000EEAC: 0AFB8B7D
	v_mul_f32_e32 v126, v126, v198                             // 00000000EEB0: 0AFD8D7E
	v_mul_f32_e32 v127, v127, v199                             // 00000000EEB4: 0AFF8F7F
	v_pk_mul_f32 v[4:5], v[128:129], v[128:129]                // 00000000EEB8: D3B14004 18030180
	v_pk_mul_f32 v[6:7], v[130:131], v[130:131]                // 00000000EEC0: D3B14006 18030582
	v_pk_fma_f32 v[4:5], v[4:5], s[78:79], v[8:9]              // 00000000EEC8: D3B04004 1C209D04
	v_pk_fma_f32 v[6:7], v[6:7], s[78:79], v[8:9]              // 00000000EED0: D3B04006 1C209D06
	v_pk_mul_f32 v[4:5], v[4:5], v[128:129]                    // 00000000EED8: D3B14004 18030104
	v_pk_mul_f32 v[6:7], v[6:7], v[130:131]                    // 00000000EEE0: D3B14006 18030506
	v_pk_mul_f32 v[4:5], v[4:5], s[60:61]                      // 00000000EEE8: D3B14004 18007904
	v_pk_mul_f32 v[6:7], v[6:7], s[60:61]                      // 00000000EEF0: D3B14006 18007906
	v_exp_f32_e32 v4, v4                                       // 00000000EEF8: 7E084104
	v_exp_f32_e32 v5, v5                                       // 00000000EEFC: 7E0A4105
	v_exp_f32_e32 v6, v6                                       // 00000000EF00: 7E0C4106
	v_exp_f32_e32 v7, v7                                       // 00000000EF04: 7E0E4107
	v_add_f32_e64 v4, v4, 1.0                                  // 00000000EF08: D1010004 0001E504
	v_add_f32_e64 v5, v5, 1.0                                  // 00000000EF10: D1010005 0001E505
	v_add_f32_e64 v6, v6, 1.0                                  // 00000000EF18: D1010006 0001E506
	v_add_f32_e64 v7, v7, 1.0                                  // 00000000EF20: D1010007 0001E507
	v_rcp_f32_e32 v4, v4                                       // 00000000EF28: 7E084504
	v_rcp_f32_e32 v5, v5                                       // 00000000EF2C: 7E0A4505
	v_rcp_f32_e32 v6, v6                                       // 00000000EF30: 7E0C4506
	v_rcp_f32_e32 v7, v7                                       // 00000000EF34: 7E0E4507
	v_mul_f32_e32 v128, v128, v4                               // 00000000EF38: 0B000980
	v_mul_f32_e32 v129, v129, v5                               // 00000000EF3C: 0B020B81
	v_mul_f32_e32 v130, v130, v6                               // 00000000EF40: 0B040D82
	v_mul_f32_e32 v131, v131, v7                               // 00000000EF44: 0B060F83
	v_mul_f32_e32 v128, v128, v200                             // 00000000EF48: 0B019180
	v_mul_f32_e32 v129, v129, v201                             // 00000000EF4C: 0B039381
	v_mul_f32_e32 v130, v130, v202                             // 00000000EF50: 0B059582
	v_mul_f32_e32 v131, v131, v203                             // 00000000EF54: 0B079783
	v_pk_mul_f32 v[4:5], v[132:133], v[132:133]                // 00000000EF58: D3B14004 18030984
	v_pk_mul_f32 v[6:7], v[134:135], v[134:135]                // 00000000EF60: D3B14006 18030D86
	v_pk_fma_f32 v[4:5], v[4:5], s[78:79], v[8:9]              // 00000000EF68: D3B04004 1C209D04
	v_pk_fma_f32 v[6:7], v[6:7], s[78:79], v[8:9]              // 00000000EF70: D3B04006 1C209D06
	v_pk_mul_f32 v[4:5], v[4:5], v[132:133]                    // 00000000EF78: D3B14004 18030904
	v_pk_mul_f32 v[6:7], v[6:7], v[134:135]                    // 00000000EF80: D3B14006 18030D06
	v_pk_mul_f32 v[4:5], v[4:5], s[60:61]                      // 00000000EF88: D3B14004 18007904
	v_pk_mul_f32 v[6:7], v[6:7], s[60:61]                      // 00000000EF90: D3B14006 18007906
	v_exp_f32_e32 v4, v4                                       // 00000000EF98: 7E084104
	v_exp_f32_e32 v5, v5                                       // 00000000EF9C: 7E0A4105
	v_exp_f32_e32 v6, v6                                       // 00000000EFA0: 7E0C4106
	v_exp_f32_e32 v7, v7                                       // 00000000EFA4: 7E0E4107
	v_add_f32_e64 v4, v4, 1.0                                  // 00000000EFA8: D1010004 0001E504
	v_add_f32_e64 v5, v5, 1.0                                  // 00000000EFB0: D1010005 0001E505
	v_add_f32_e64 v6, v6, 1.0                                  // 00000000EFB8: D1010006 0001E506
	v_add_f32_e64 v7, v7, 1.0                                  // 00000000EFC0: D1010007 0001E507
	v_rcp_f32_e32 v4, v4                                       // 00000000EFC8: 7E084504
	v_rcp_f32_e32 v5, v5                                       // 00000000EFCC: 7E0A4505
	v_rcp_f32_e32 v6, v6                                       // 00000000EFD0: 7E0C4506
	v_rcp_f32_e32 v7, v7                                       // 00000000EFD4: 7E0E4507
	v_mul_f32_e32 v132, v132, v4                               // 00000000EFD8: 0B080984
	v_mul_f32_e32 v133, v133, v5                               // 00000000EFDC: 0B0A0B85
	v_mul_f32_e32 v134, v134, v6                               // 00000000EFE0: 0B0C0D86
	v_mul_f32_e32 v135, v135, v7                               // 00000000EFE4: 0B0E0F87
	v_mul_f32_e32 v132, v132, v204                             // 00000000EFE8: 0B099984
	v_mul_f32_e32 v133, v133, v205                             // 00000000EFEC: 0B0B9B85
	v_mul_f32_e32 v134, v134, v206                             // 00000000EFF0: 0B0D9D86
	v_mul_f32_e32 v135, v135, v207                             // 00000000EFF4: 0B0F9F87
	v_pk_mul_f32 v[4:5], v[136:137], v[136:137]                // 00000000EFF8: D3B14004 18031188
	v_pk_mul_f32 v[6:7], v[138:139], v[138:139]                // 00000000F000: D3B14006 1803158A
	v_pk_fma_f32 v[4:5], v[4:5], s[78:79], v[8:9]              // 00000000F008: D3B04004 1C209D04
	v_pk_fma_f32 v[6:7], v[6:7], s[78:79], v[8:9]              // 00000000F010: D3B04006 1C209D06
	v_pk_mul_f32 v[4:5], v[4:5], v[136:137]                    // 00000000F018: D3B14004 18031104
	v_pk_mul_f32 v[6:7], v[6:7], v[138:139]                    // 00000000F020: D3B14006 18031506
	v_pk_mul_f32 v[4:5], v[4:5], s[60:61]                      // 00000000F028: D3B14004 18007904
	v_pk_mul_f32 v[6:7], v[6:7], s[60:61]                      // 00000000F030: D3B14006 18007906
	v_exp_f32_e32 v4, v4                                       // 00000000F038: 7E084104
	v_exp_f32_e32 v5, v5                                       // 00000000F03C: 7E0A4105
	v_exp_f32_e32 v6, v6                                       // 00000000F040: 7E0C4106
	v_exp_f32_e32 v7, v7                                       // 00000000F044: 7E0E4107
	v_add_f32_e64 v4, v4, 1.0                                  // 00000000F048: D1010004 0001E504
	v_add_f32_e64 v5, v5, 1.0                                  // 00000000F050: D1010005 0001E505
	v_add_f32_e64 v6, v6, 1.0                                  // 00000000F058: D1010006 0001E506
	v_add_f32_e64 v7, v7, 1.0                                  // 00000000F060: D1010007 0001E507
	v_rcp_f32_e32 v4, v4                                       // 00000000F068: 7E084504
	v_rcp_f32_e32 v5, v5                                       // 00000000F06C: 7E0A4505
	v_rcp_f32_e32 v6, v6                                       // 00000000F070: 7E0C4506
	v_rcp_f32_e32 v7, v7                                       // 00000000F074: 7E0E4507
	v_mul_f32_e32 v136, v136, v4                               // 00000000F078: 0B100988
	v_mul_f32_e32 v137, v137, v5                               // 00000000F07C: 0B120B89
	v_mul_f32_e32 v138, v138, v6                               // 00000000F080: 0B140D8A
	v_mul_f32_e32 v139, v139, v7                               // 00000000F084: 0B160F8B
	v_mul_f32_e32 v136, v136, v208                             // 00000000F088: 0B11A188
	v_mul_f32_e32 v137, v137, v209                             // 00000000F08C: 0B13A389
	v_mul_f32_e32 v138, v138, v210                             // 00000000F090: 0B15A58A
	v_mul_f32_e32 v139, v139, v211                             // 00000000F094: 0B17A78B
	v_pk_mul_f32 v[4:5], v[140:141], v[140:141]                // 00000000F098: D3B14004 1803198C
	v_pk_mul_f32 v[6:7], v[142:143], v[142:143]                // 00000000F0A0: D3B14006 18031D8E
	v_pk_fma_f32 v[4:5], v[4:5], s[78:79], v[8:9]              // 00000000F0A8: D3B04004 1C209D04
	v_pk_fma_f32 v[6:7], v[6:7], s[78:79], v[8:9]              // 00000000F0B0: D3B04006 1C209D06
	v_pk_mul_f32 v[4:5], v[4:5], v[140:141]                    // 00000000F0B8: D3B14004 18031904
	v_pk_mul_f32 v[6:7], v[6:7], v[142:143]                    // 00000000F0C0: D3B14006 18031D06
	v_pk_mul_f32 v[4:5], v[4:5], s[60:61]                      // 00000000F0C8: D3B14004 18007904
	v_pk_mul_f32 v[6:7], v[6:7], s[60:61]                      // 00000000F0D0: D3B14006 18007906
	v_exp_f32_e32 v4, v4                                       // 00000000F0D8: 7E084104
	v_exp_f32_e32 v5, v5                                       // 00000000F0DC: 7E0A4105
	v_exp_f32_e32 v6, v6                                       // 00000000F0E0: 7E0C4106
	v_exp_f32_e32 v7, v7                                       // 00000000F0E4: 7E0E4107
	v_add_f32_e64 v4, v4, 1.0                                  // 00000000F0E8: D1010004 0001E504
	v_add_f32_e64 v5, v5, 1.0                                  // 00000000F0F0: D1010005 0001E505
	v_add_f32_e64 v6, v6, 1.0                                  // 00000000F0F8: D1010006 0001E506
	v_add_f32_e64 v7, v7, 1.0                                  // 00000000F100: D1010007 0001E507
	v_rcp_f32_e32 v4, v4                                       // 00000000F108: 7E084504
	v_rcp_f32_e32 v5, v5                                       // 00000000F10C: 7E0A4505
	v_rcp_f32_e32 v6, v6                                       // 00000000F110: 7E0C4506
	v_rcp_f32_e32 v7, v7                                       // 00000000F114: 7E0E4507
	v_mul_f32_e32 v140, v140, v4                               // 00000000F118: 0B18098C
	v_mul_f32_e32 v141, v141, v5                               // 00000000F11C: 0B1A0B8D
	v_mul_f32_e32 v142, v142, v6                               // 00000000F120: 0B1C0D8E
	v_mul_f32_e32 v143, v143, v7                               // 00000000F124: 0B1E0F8F
	v_mul_f32_e32 v140, v140, v212                             // 00000000F128: 0B19A98C
	v_mul_f32_e32 v141, v141, v213                             // 00000000F12C: 0B1BAB8D
	v_mul_f32_e32 v142, v142, v214                             // 00000000F130: 0B1DAD8E
	v_mul_f32_e32 v143, v143, v215                             // 00000000F134: 0B1FAF8F
	v_pk_mul_f32 v[4:5], v[144:145], v[144:145]                // 00000000F138: D3B14004 18032190
	v_pk_mul_f32 v[6:7], v[146:147], v[146:147]                // 00000000F140: D3B14006 18032592
	v_pk_fma_f32 v[4:5], v[4:5], s[78:79], v[8:9]              // 00000000F148: D3B04004 1C209D04
	v_pk_fma_f32 v[6:7], v[6:7], s[78:79], v[8:9]              // 00000000F150: D3B04006 1C209D06
	v_pk_mul_f32 v[4:5], v[4:5], v[144:145]                    // 00000000F158: D3B14004 18032104
	v_pk_mul_f32 v[6:7], v[6:7], v[146:147]                    // 00000000F160: D3B14006 18032506
	v_pk_mul_f32 v[4:5], v[4:5], s[60:61]                      // 00000000F168: D3B14004 18007904
	v_pk_mul_f32 v[6:7], v[6:7], s[60:61]                      // 00000000F170: D3B14006 18007906
	v_exp_f32_e32 v4, v4                                       // 00000000F178: 7E084104
	v_exp_f32_e32 v5, v5                                       // 00000000F17C: 7E0A4105
	v_exp_f32_e32 v6, v6                                       // 00000000F180: 7E0C4106
	v_exp_f32_e32 v7, v7                                       // 00000000F184: 7E0E4107
	v_add_f32_e64 v4, v4, 1.0                                  // 00000000F188: D1010004 0001E504
	v_add_f32_e64 v5, v5, 1.0                                  // 00000000F190: D1010005 0001E505
	v_add_f32_e64 v6, v6, 1.0                                  // 00000000F198: D1010006 0001E506
	v_add_f32_e64 v7, v7, 1.0                                  // 00000000F1A0: D1010007 0001E507
	v_rcp_f32_e32 v4, v4                                       // 00000000F1A8: 7E084504
	v_rcp_f32_e32 v5, v5                                       // 00000000F1AC: 7E0A4505
	v_rcp_f32_e32 v6, v6                                       // 00000000F1B0: 7E0C4506
	v_rcp_f32_e32 v7, v7                                       // 00000000F1B4: 7E0E4507
	v_mul_f32_e32 v144, v144, v4                               // 00000000F1B8: 0B200990
	v_mul_f32_e32 v145, v145, v5                               // 00000000F1BC: 0B220B91
	v_mul_f32_e32 v146, v146, v6                               // 00000000F1C0: 0B240D92
	v_mul_f32_e32 v147, v147, v7                               // 00000000F1C4: 0B260F93
	v_mul_f32_e32 v144, v144, v216                             // 00000000F1C8: 0B21B190
	v_mul_f32_e32 v145, v145, v217                             // 00000000F1CC: 0B23B391
	v_mul_f32_e32 v146, v146, v218                             // 00000000F1D0: 0B25B592
	v_mul_f32_e32 v147, v147, v219                             // 00000000F1D4: 0B27B793
	v_pk_mul_f32 v[4:5], v[148:149], v[148:149]                // 00000000F1D8: D3B14004 18032994
	v_pk_mul_f32 v[6:7], v[150:151], v[150:151]                // 00000000F1E0: D3B14006 18032D96
	v_pk_fma_f32 v[4:5], v[4:5], s[78:79], v[8:9]              // 00000000F1E8: D3B04004 1C209D04
	v_pk_fma_f32 v[6:7], v[6:7], s[78:79], v[8:9]              // 00000000F1F0: D3B04006 1C209D06
	v_pk_mul_f32 v[4:5], v[4:5], v[148:149]                    // 00000000F1F8: D3B14004 18032904
	v_pk_mul_f32 v[6:7], v[6:7], v[150:151]                    // 00000000F200: D3B14006 18032D06
	v_pk_mul_f32 v[4:5], v[4:5], s[60:61]                      // 00000000F208: D3B14004 18007904
	v_pk_mul_f32 v[6:7], v[6:7], s[60:61]                      // 00000000F210: D3B14006 18007906
	v_exp_f32_e32 v4, v4                                       // 00000000F218: 7E084104
	v_exp_f32_e32 v5, v5                                       // 00000000F21C: 7E0A4105
	v_exp_f32_e32 v6, v6                                       // 00000000F220: 7E0C4106
	v_exp_f32_e32 v7, v7                                       // 00000000F224: 7E0E4107
	v_add_f32_e64 v4, v4, 1.0                                  // 00000000F228: D1010004 0001E504
	v_add_f32_e64 v5, v5, 1.0                                  // 00000000F230: D1010005 0001E505
	v_add_f32_e64 v6, v6, 1.0                                  // 00000000F238: D1010006 0001E506
	v_add_f32_e64 v7, v7, 1.0                                  // 00000000F240: D1010007 0001E507
	v_rcp_f32_e32 v4, v4                                       // 00000000F248: 7E084504
	v_rcp_f32_e32 v5, v5                                       // 00000000F24C: 7E0A4505
	v_rcp_f32_e32 v6, v6                                       // 00000000F250: 7E0C4506
	v_rcp_f32_e32 v7, v7                                       // 00000000F254: 7E0E4507
	v_mul_f32_e32 v148, v148, v4                               // 00000000F258: 0B280994
	v_mul_f32_e32 v149, v149, v5                               // 00000000F25C: 0B2A0B95
	v_mul_f32_e32 v150, v150, v6                               // 00000000F260: 0B2C0D96
	v_mul_f32_e32 v151, v151, v7                               // 00000000F264: 0B2E0F97
	v_mul_f32_e32 v148, v148, v220                             // 00000000F268: 0B29B994
	v_mul_f32_e32 v149, v149, v221                             // 00000000F26C: 0B2BBB95
	v_mul_f32_e32 v150, v150, v222                             // 00000000F270: 0B2DBD96
	v_mul_f32_e32 v151, v151, v223                             // 00000000F274: 0B2FBF97
	v_pk_mul_f32 v[4:5], v[152:153], v[152:153]                // 00000000F278: D3B14004 18033198
	v_pk_mul_f32 v[6:7], v[154:155], v[154:155]                // 00000000F280: D3B14006 1803359A
	v_pk_fma_f32 v[4:5], v[4:5], s[78:79], v[8:9]              // 00000000F288: D3B04004 1C209D04
	v_pk_fma_f32 v[6:7], v[6:7], s[78:79], v[8:9]              // 00000000F290: D3B04006 1C209D06
	v_pk_mul_f32 v[4:5], v[4:5], v[152:153]                    // 00000000F298: D3B14004 18033104
	v_pk_mul_f32 v[6:7], v[6:7], v[154:155]                    // 00000000F2A0: D3B14006 18033506
	v_pk_mul_f32 v[4:5], v[4:5], s[60:61]                      // 00000000F2A8: D3B14004 18007904
	v_pk_mul_f32 v[6:7], v[6:7], s[60:61]                      // 00000000F2B0: D3B14006 18007906
	v_exp_f32_e32 v4, v4                                       // 00000000F2B8: 7E084104
	v_exp_f32_e32 v5, v5                                       // 00000000F2BC: 7E0A4105
	v_exp_f32_e32 v6, v6                                       // 00000000F2C0: 7E0C4106
	v_exp_f32_e32 v7, v7                                       // 00000000F2C4: 7E0E4107
	v_add_f32_e64 v4, v4, 1.0                                  // 00000000F2C8: D1010004 0001E504
	v_add_f32_e64 v5, v5, 1.0                                  // 00000000F2D0: D1010005 0001E505
	v_add_f32_e64 v6, v6, 1.0                                  // 00000000F2D8: D1010006 0001E506
	v_add_f32_e64 v7, v7, 1.0                                  // 00000000F2E0: D1010007 0001E507
	v_rcp_f32_e32 v4, v4                                       // 00000000F2E8: 7E084504
	v_rcp_f32_e32 v5, v5                                       // 00000000F2EC: 7E0A4505
	v_rcp_f32_e32 v6, v6                                       // 00000000F2F0: 7E0C4506
	v_rcp_f32_e32 v7, v7                                       // 00000000F2F4: 7E0E4507
	v_mul_f32_e32 v152, v152, v4                               // 00000000F2F8: 0B300998
	v_mul_f32_e32 v153, v153, v5                               // 00000000F2FC: 0B320B99
	v_mul_f32_e32 v154, v154, v6                               // 00000000F300: 0B340D9A
	v_mul_f32_e32 v155, v155, v7                               // 00000000F304: 0B360F9B
	v_mul_f32_e32 v152, v152, v224                             // 00000000F308: 0B31C198
	v_mul_f32_e32 v153, v153, v225                             // 00000000F30C: 0B33C399
	v_mul_f32_e32 v154, v154, v226                             // 00000000F310: 0B35C59A
	v_mul_f32_e32 v155, v155, v227                             // 00000000F314: 0B37C79B
	v_pk_mul_f32 v[4:5], v[156:157], v[156:157]                // 00000000F318: D3B14004 1803399C
	v_pk_mul_f32 v[6:7], v[158:159], v[158:159]                // 00000000F320: D3B14006 18033D9E
	v_pk_fma_f32 v[4:5], v[4:5], s[78:79], v[8:9]              // 00000000F328: D3B04004 1C209D04
	v_pk_fma_f32 v[6:7], v[6:7], s[78:79], v[8:9]              // 00000000F330: D3B04006 1C209D06
	v_pk_mul_f32 v[4:5], v[4:5], v[156:157]                    // 00000000F338: D3B14004 18033904
	v_pk_mul_f32 v[6:7], v[6:7], v[158:159]                    // 00000000F340: D3B14006 18033D06
	v_pk_mul_f32 v[4:5], v[4:5], s[60:61]                      // 00000000F348: D3B14004 18007904
	v_pk_mul_f32 v[6:7], v[6:7], s[60:61]                      // 00000000F350: D3B14006 18007906
	v_exp_f32_e32 v4, v4                                       // 00000000F358: 7E084104
	v_exp_f32_e32 v5, v5                                       // 00000000F35C: 7E0A4105
	v_exp_f32_e32 v6, v6                                       // 00000000F360: 7E0C4106
	v_exp_f32_e32 v7, v7                                       // 00000000F364: 7E0E4107
	v_add_f32_e64 v4, v4, 1.0                                  // 00000000F368: D1010004 0001E504
	v_add_f32_e64 v5, v5, 1.0                                  // 00000000F370: D1010005 0001E505
	v_add_f32_e64 v6, v6, 1.0                                  // 00000000F378: D1010006 0001E506
	v_add_f32_e64 v7, v7, 1.0                                  // 00000000F380: D1010007 0001E507
	v_rcp_f32_e32 v4, v4                                       // 00000000F388: 7E084504
	v_rcp_f32_e32 v5, v5                                       // 00000000F38C: 7E0A4505
	v_rcp_f32_e32 v6, v6                                       // 00000000F390: 7E0C4506
	v_rcp_f32_e32 v7, v7                                       // 00000000F394: 7E0E4507
	v_mul_f32_e32 v156, v156, v4                               // 00000000F398: 0B38099C
	v_mul_f32_e32 v157, v157, v5                               // 00000000F39C: 0B3A0B9D
	v_mul_f32_e32 v158, v158, v6                               // 00000000F3A0: 0B3C0D9E
	v_mul_f32_e32 v159, v159, v7                               // 00000000F3A4: 0B3E0F9F
	v_mul_f32_e32 v156, v156, v228                             // 00000000F3A8: 0B39C99C
	v_mul_f32_e32 v157, v157, v229                             // 00000000F3AC: 0B3BCB9D
	v_mul_f32_e32 v158, v158, v230                             // 00000000F3B0: 0B3DCD9E
	v_mul_f32_e32 v159, v159, v231                             // 00000000F3B4: 0B3FCF9F
	s_branch label_34B2                                        // 00000000F3B8: BF820240

000000000000f3bc <label_3272>:
	v_mul_f32_e64 v4, -v88, s6                                 // 00000000F3BC: D1050004 20000D58
	v_mul_f32_e64 v5, -v89, s6                                 // 00000000F3C4: D1050005 20000D59
	v_mul_f32_e64 v6, -v90, s6                                 // 00000000F3CC: D1050006 20000D5A
	v_mul_f32_e64 v7, -v91, s6                                 // 00000000F3D4: D1050007 20000D5B
	v_exp_f32_e32 v4, v4                                       // 00000000F3DC: 7E084104
	v_exp_f32_e32 v5, v5                                       // 00000000F3E0: 7E0A4105
	v_exp_f32_e32 v6, v6                                       // 00000000F3E4: 7E0C4106
	v_exp_f32_e32 v7, v7                                       // 00000000F3E8: 7E0E4107
	v_add_f32_e64 v4, v4, 1.0                                  // 00000000F3EC: D1010004 0001E504
	v_add_f32_e64 v5, v5, 1.0                                  // 00000000F3F4: D1010005 0001E505
	v_add_f32_e64 v6, v6, 1.0                                  // 00000000F3FC: D1010006 0001E506
	v_add_f32_e64 v7, v7, 1.0                                  // 00000000F404: D1010007 0001E507
	v_rcp_f32_e32 v4, v4                                       // 00000000F40C: 7E084504
	v_rcp_f32_e32 v5, v5                                       // 00000000F410: 7E0A4505
	v_rcp_f32_e32 v6, v6                                       // 00000000F414: 7E0C4506
	v_rcp_f32_e32 v7, v7                                       // 00000000F418: 7E0E4507
	v_mul_f32_e32 v88, v88, v4                                 // 00000000F41C: 0AB00958
	v_mul_f32_e32 v89, v89, v5                                 // 00000000F420: 0AB20B59
	v_mul_f32_e32 v90, v90, v6                                 // 00000000F424: 0AB40D5A
	v_mul_f32_e32 v91, v91, v7                                 // 00000000F428: 0AB60F5B
	v_mul_f32_e32 v88, v88, v160                               // 00000000F42C: 0AB14158
	v_mul_f32_e32 v89, v89, v161                               // 00000000F430: 0AB34359
	v_mul_f32_e32 v90, v90, v162                               // 00000000F434: 0AB5455A
	v_mul_f32_e32 v91, v91, v163                               // 00000000F438: 0AB7475B
	v_mul_f32_e64 v4, -v92, s6                                 // 00000000F43C: D1050004 20000D5C
	v_mul_f32_e64 v5, -v93, s6                                 // 00000000F444: D1050005 20000D5D
	v_mul_f32_e64 v6, -v94, s6                                 // 00000000F44C: D1050006 20000D5E
	v_mul_f32_e64 v7, -v95, s6                                 // 00000000F454: D1050007 20000D5F
	v_exp_f32_e32 v4, v4                                       // 00000000F45C: 7E084104
	v_exp_f32_e32 v5, v5                                       // 00000000F460: 7E0A4105
	v_exp_f32_e32 v6, v6                                       // 00000000F464: 7E0C4106
	v_exp_f32_e32 v7, v7                                       // 00000000F468: 7E0E4107
	v_add_f32_e64 v4, v4, 1.0                                  // 00000000F46C: D1010004 0001E504
	v_add_f32_e64 v5, v5, 1.0                                  // 00000000F474: D1010005 0001E505
	v_add_f32_e64 v6, v6, 1.0                                  // 00000000F47C: D1010006 0001E506
	v_add_f32_e64 v7, v7, 1.0                                  // 00000000F484: D1010007 0001E507
	v_rcp_f32_e32 v4, v4                                       // 00000000F48C: 7E084504
	v_rcp_f32_e32 v5, v5                                       // 00000000F490: 7E0A4505
	v_rcp_f32_e32 v6, v6                                       // 00000000F494: 7E0C4506
	v_rcp_f32_e32 v7, v7                                       // 00000000F498: 7E0E4507
	v_mul_f32_e32 v92, v92, v4                                 // 00000000F49C: 0AB8095C
	v_mul_f32_e32 v93, v93, v5                                 // 00000000F4A0: 0ABA0B5D
	v_mul_f32_e32 v94, v94, v6                                 // 00000000F4A4: 0ABC0D5E
	v_mul_f32_e32 v95, v95, v7                                 // 00000000F4A8: 0ABE0F5F
	v_mul_f32_e32 v92, v92, v164                               // 00000000F4AC: 0AB9495C
	v_mul_f32_e32 v93, v93, v165                               // 00000000F4B0: 0ABB4B5D
	v_mul_f32_e32 v94, v94, v166                               // 00000000F4B4: 0ABD4D5E
	v_mul_f32_e32 v95, v95, v167                               // 00000000F4B8: 0ABF4F5F
	v_mul_f32_e64 v4, -v96, s6                                 // 00000000F4BC: D1050004 20000D60
	v_mul_f32_e64 v5, -v97, s6                                 // 00000000F4C4: D1050005 20000D61
	v_mul_f32_e64 v6, -v98, s6                                 // 00000000F4CC: D1050006 20000D62
	v_mul_f32_e64 v7, -v99, s6                                 // 00000000F4D4: D1050007 20000D63
	v_exp_f32_e32 v4, v4                                       // 00000000F4DC: 7E084104
	v_exp_f32_e32 v5, v5                                       // 00000000F4E0: 7E0A4105
	v_exp_f32_e32 v6, v6                                       // 00000000F4E4: 7E0C4106
	v_exp_f32_e32 v7, v7                                       // 00000000F4E8: 7E0E4107
	v_add_f32_e64 v4, v4, 1.0                                  // 00000000F4EC: D1010004 0001E504
	v_add_f32_e64 v5, v5, 1.0                                  // 00000000F4F4: D1010005 0001E505
	v_add_f32_e64 v6, v6, 1.0                                  // 00000000F4FC: D1010006 0001E506
	v_add_f32_e64 v7, v7, 1.0                                  // 00000000F504: D1010007 0001E507
	v_rcp_f32_e32 v4, v4                                       // 00000000F50C: 7E084504
	v_rcp_f32_e32 v5, v5                                       // 00000000F510: 7E0A4505
	v_rcp_f32_e32 v6, v6                                       // 00000000F514: 7E0C4506
	v_rcp_f32_e32 v7, v7                                       // 00000000F518: 7E0E4507
	v_mul_f32_e32 v96, v96, v4                                 // 00000000F51C: 0AC00960
	v_mul_f32_e32 v97, v97, v5                                 // 00000000F520: 0AC20B61
	v_mul_f32_e32 v98, v98, v6                                 // 00000000F524: 0AC40D62
	v_mul_f32_e32 v99, v99, v7                                 // 00000000F528: 0AC60F63
	v_mul_f32_e32 v96, v96, v168                               // 00000000F52C: 0AC15160
	v_mul_f32_e32 v97, v97, v169                               // 00000000F530: 0AC35361
	v_mul_f32_e32 v98, v98, v170                               // 00000000F534: 0AC55562
	v_mul_f32_e32 v99, v99, v171                               // 00000000F538: 0AC75763
	v_mul_f32_e64 v4, -v100, s6                                // 00000000F53C: D1050004 20000D64
	v_mul_f32_e64 v5, -v101, s6                                // 00000000F544: D1050005 20000D65
	v_mul_f32_e64 v6, -v102, s6                                // 00000000F54C: D1050006 20000D66
	v_mul_f32_e64 v7, -v103, s6                                // 00000000F554: D1050007 20000D67
	v_exp_f32_e32 v4, v4                                       // 00000000F55C: 7E084104
	v_exp_f32_e32 v5, v5                                       // 00000000F560: 7E0A4105
	v_exp_f32_e32 v6, v6                                       // 00000000F564: 7E0C4106
	v_exp_f32_e32 v7, v7                                       // 00000000F568: 7E0E4107
	v_add_f32_e64 v4, v4, 1.0                                  // 00000000F56C: D1010004 0001E504
	v_add_f32_e64 v5, v5, 1.0                                  // 00000000F574: D1010005 0001E505
	v_add_f32_e64 v6, v6, 1.0                                  // 00000000F57C: D1010006 0001E506
	v_add_f32_e64 v7, v7, 1.0                                  // 00000000F584: D1010007 0001E507
	v_rcp_f32_e32 v4, v4                                       // 00000000F58C: 7E084504
	v_rcp_f32_e32 v5, v5                                       // 00000000F590: 7E0A4505
	v_rcp_f32_e32 v6, v6                                       // 00000000F594: 7E0C4506
	v_rcp_f32_e32 v7, v7                                       // 00000000F598: 7E0E4507
	v_mul_f32_e32 v100, v100, v4                               // 00000000F59C: 0AC80964
	v_mul_f32_e32 v101, v101, v5                               // 00000000F5A0: 0ACA0B65
	v_mul_f32_e32 v102, v102, v6                               // 00000000F5A4: 0ACC0D66
	v_mul_f32_e32 v103, v103, v7                               // 00000000F5A8: 0ACE0F67
	v_mul_f32_e32 v100, v100, v172                             // 00000000F5AC: 0AC95964
	v_mul_f32_e32 v101, v101, v173                             // 00000000F5B0: 0ACB5B65
	v_mul_f32_e32 v102, v102, v174                             // 00000000F5B4: 0ACD5D66
	v_mul_f32_e32 v103, v103, v175                             // 00000000F5B8: 0ACF5F67
	v_mul_f32_e64 v4, -v104, s6                                // 00000000F5BC: D1050004 20000D68
	v_mul_f32_e64 v5, -v105, s6                                // 00000000F5C4: D1050005 20000D69
	v_mul_f32_e64 v6, -v106, s6                                // 00000000F5CC: D1050006 20000D6A
	v_mul_f32_e64 v7, -v107, s6                                // 00000000F5D4: D1050007 20000D6B
	v_exp_f32_e32 v4, v4                                       // 00000000F5DC: 7E084104
	v_exp_f32_e32 v5, v5                                       // 00000000F5E0: 7E0A4105
	v_exp_f32_e32 v6, v6                                       // 00000000F5E4: 7E0C4106
	v_exp_f32_e32 v7, v7                                       // 00000000F5E8: 7E0E4107
	v_add_f32_e64 v4, v4, 1.0                                  // 00000000F5EC: D1010004 0001E504
	v_add_f32_e64 v5, v5, 1.0                                  // 00000000F5F4: D1010005 0001E505
	v_add_f32_e64 v6, v6, 1.0                                  // 00000000F5FC: D1010006 0001E506
	v_add_f32_e64 v7, v7, 1.0                                  // 00000000F604: D1010007 0001E507
	v_rcp_f32_e32 v4, v4                                       // 00000000F60C: 7E084504
	v_rcp_f32_e32 v5, v5                                       // 00000000F610: 7E0A4505
	v_rcp_f32_e32 v6, v6                                       // 00000000F614: 7E0C4506
	v_rcp_f32_e32 v7, v7                                       // 00000000F618: 7E0E4507
	v_mul_f32_e32 v104, v104, v4                               // 00000000F61C: 0AD00968
	v_mul_f32_e32 v105, v105, v5                               // 00000000F620: 0AD20B69
	v_mul_f32_e32 v106, v106, v6                               // 00000000F624: 0AD40D6A
	v_mul_f32_e32 v107, v107, v7                               // 00000000F628: 0AD60F6B
	v_mul_f32_e32 v104, v104, v176                             // 00000000F62C: 0AD16168
	v_mul_f32_e32 v105, v105, v177                             // 00000000F630: 0AD36369
	v_mul_f32_e32 v106, v106, v178                             // 00000000F634: 0AD5656A
	v_mul_f32_e32 v107, v107, v179                             // 00000000F638: 0AD7676B
	v_mul_f32_e64 v4, -v108, s6                                // 00000000F63C: D1050004 20000D6C
	v_mul_f32_e64 v5, -v109, s6                                // 00000000F644: D1050005 20000D6D
	v_mul_f32_e64 v6, -v110, s6                                // 00000000F64C: D1050006 20000D6E
	v_mul_f32_e64 v7, -v111, s6                                // 00000000F654: D1050007 20000D6F
	v_exp_f32_e32 v4, v4                                       // 00000000F65C: 7E084104
	v_exp_f32_e32 v5, v5                                       // 00000000F660: 7E0A4105
	v_exp_f32_e32 v6, v6                                       // 00000000F664: 7E0C4106
	v_exp_f32_e32 v7, v7                                       // 00000000F668: 7E0E4107
	v_add_f32_e64 v4, v4, 1.0                                  // 00000000F66C: D1010004 0001E504
	v_add_f32_e64 v5, v5, 1.0                                  // 00000000F674: D1010005 0001E505
	v_add_f32_e64 v6, v6, 1.0                                  // 00000000F67C: D1010006 0001E506
	v_add_f32_e64 v7, v7, 1.0                                  // 00000000F684: D1010007 0001E507
	v_rcp_f32_e32 v4, v4                                       // 00000000F68C: 7E084504
	v_rcp_f32_e32 v5, v5                                       // 00000000F690: 7E0A4505
	v_rcp_f32_e32 v6, v6                                       // 00000000F694: 7E0C4506
	v_rcp_f32_e32 v7, v7                                       // 00000000F698: 7E0E4507
	v_mul_f32_e32 v108, v108, v4                               // 00000000F69C: 0AD8096C
	v_mul_f32_e32 v109, v109, v5                               // 00000000F6A0: 0ADA0B6D
	v_mul_f32_e32 v110, v110, v6                               // 00000000F6A4: 0ADC0D6E
	v_mul_f32_e32 v111, v111, v7                               // 00000000F6A8: 0ADE0F6F
	v_mul_f32_e32 v108, v108, v180                             // 00000000F6AC: 0AD9696C
	v_mul_f32_e32 v109, v109, v181                             // 00000000F6B0: 0ADB6B6D
	v_mul_f32_e32 v110, v110, v182                             // 00000000F6B4: 0ADD6D6E
	v_mul_f32_e32 v111, v111, v183                             // 00000000F6B8: 0ADF6F6F
	v_mul_f32_e64 v4, -v112, s6                                // 00000000F6BC: D1050004 20000D70
	v_mul_f32_e64 v5, -v113, s6                                // 00000000F6C4: D1050005 20000D71
	v_mul_f32_e64 v6, -v114, s6                                // 00000000F6CC: D1050006 20000D72
	v_mul_f32_e64 v7, -v115, s6                                // 00000000F6D4: D1050007 20000D73
	v_exp_f32_e32 v4, v4                                       // 00000000F6DC: 7E084104
	v_exp_f32_e32 v5, v5                                       // 00000000F6E0: 7E0A4105
	v_exp_f32_e32 v6, v6                                       // 00000000F6E4: 7E0C4106
	v_exp_f32_e32 v7, v7                                       // 00000000F6E8: 7E0E4107
	v_add_f32_e64 v4, v4, 1.0                                  // 00000000F6EC: D1010004 0001E504
	v_add_f32_e64 v5, v5, 1.0                                  // 00000000F6F4: D1010005 0001E505
	v_add_f32_e64 v6, v6, 1.0                                  // 00000000F6FC: D1010006 0001E506
	v_add_f32_e64 v7, v7, 1.0                                  // 00000000F704: D1010007 0001E507
	v_rcp_f32_e32 v4, v4                                       // 00000000F70C: 7E084504
	v_rcp_f32_e32 v5, v5                                       // 00000000F710: 7E0A4505
	v_rcp_f32_e32 v6, v6                                       // 00000000F714: 7E0C4506
	v_rcp_f32_e32 v7, v7                                       // 00000000F718: 7E0E4507
	v_mul_f32_e32 v112, v112, v4                               // 00000000F71C: 0AE00970
	v_mul_f32_e32 v113, v113, v5                               // 00000000F720: 0AE20B71
	v_mul_f32_e32 v114, v114, v6                               // 00000000F724: 0AE40D72
	v_mul_f32_e32 v115, v115, v7                               // 00000000F728: 0AE60F73
	v_mul_f32_e32 v112, v112, v184                             // 00000000F72C: 0AE17170
	v_mul_f32_e32 v113, v113, v185                             // 00000000F730: 0AE37371
	v_mul_f32_e32 v114, v114, v186                             // 00000000F734: 0AE57572
	v_mul_f32_e32 v115, v115, v187                             // 00000000F738: 0AE77773
	v_mul_f32_e64 v4, -v116, s6                                // 00000000F73C: D1050004 20000D74
	v_mul_f32_e64 v5, -v117, s6                                // 00000000F744: D1050005 20000D75
	v_mul_f32_e64 v6, -v118, s6                                // 00000000F74C: D1050006 20000D76
	v_mul_f32_e64 v7, -v119, s6                                // 00000000F754: D1050007 20000D77
	v_exp_f32_e32 v4, v4                                       // 00000000F75C: 7E084104
	v_exp_f32_e32 v5, v5                                       // 00000000F760: 7E0A4105
	v_exp_f32_e32 v6, v6                                       // 00000000F764: 7E0C4106
	v_exp_f32_e32 v7, v7                                       // 00000000F768: 7E0E4107
	v_add_f32_e64 v4, v4, 1.0                                  // 00000000F76C: D1010004 0001E504
	v_add_f32_e64 v5, v5, 1.0                                  // 00000000F774: D1010005 0001E505
	v_add_f32_e64 v6, v6, 1.0                                  // 00000000F77C: D1010006 0001E506
	v_add_f32_e64 v7, v7, 1.0                                  // 00000000F784: D1010007 0001E507
	v_rcp_f32_e32 v4, v4                                       // 00000000F78C: 7E084504
	v_rcp_f32_e32 v5, v5                                       // 00000000F790: 7E0A4505
	v_rcp_f32_e32 v6, v6                                       // 00000000F794: 7E0C4506
	v_rcp_f32_e32 v7, v7                                       // 00000000F798: 7E0E4507
	v_mul_f32_e32 v116, v116, v4                               // 00000000F79C: 0AE80974
	v_mul_f32_e32 v117, v117, v5                               // 00000000F7A0: 0AEA0B75
	v_mul_f32_e32 v118, v118, v6                               // 00000000F7A4: 0AEC0D76
	v_mul_f32_e32 v119, v119, v7                               // 00000000F7A8: 0AEE0F77
	v_mul_f32_e32 v116, v116, v188                             // 00000000F7AC: 0AE97974
	v_mul_f32_e32 v117, v117, v189                             // 00000000F7B0: 0AEB7B75
	v_mul_f32_e32 v118, v118, v190                             // 00000000F7B4: 0AED7D76
	v_mul_f32_e32 v119, v119, v191                             // 00000000F7B8: 0AEF7F77
	v_mul_f32_e64 v4, -v120, s6                                // 00000000F7BC: D1050004 20000D78
	v_mul_f32_e64 v5, -v121, s6                                // 00000000F7C4: D1050005 20000D79
	v_mul_f32_e64 v6, -v122, s6                                // 00000000F7CC: D1050006 20000D7A
	v_mul_f32_e64 v7, -v123, s6                                // 00000000F7D4: D1050007 20000D7B
	v_exp_f32_e32 v4, v4                                       // 00000000F7DC: 7E084104
	v_exp_f32_e32 v5, v5                                       // 00000000F7E0: 7E0A4105
	v_exp_f32_e32 v6, v6                                       // 00000000F7E4: 7E0C4106
	v_exp_f32_e32 v7, v7                                       // 00000000F7E8: 7E0E4107
	v_add_f32_e64 v4, v4, 1.0                                  // 00000000F7EC: D1010004 0001E504
	v_add_f32_e64 v5, v5, 1.0                                  // 00000000F7F4: D1010005 0001E505
	v_add_f32_e64 v6, v6, 1.0                                  // 00000000F7FC: D1010006 0001E506
	v_add_f32_e64 v7, v7, 1.0                                  // 00000000F804: D1010007 0001E507
	v_rcp_f32_e32 v4, v4                                       // 00000000F80C: 7E084504
	v_rcp_f32_e32 v5, v5                                       // 00000000F810: 7E0A4505
	v_rcp_f32_e32 v6, v6                                       // 00000000F814: 7E0C4506
	v_rcp_f32_e32 v7, v7                                       // 00000000F818: 7E0E4507
	v_mul_f32_e32 v120, v120, v4                               // 00000000F81C: 0AF00978
	v_mul_f32_e32 v121, v121, v5                               // 00000000F820: 0AF20B79
	v_mul_f32_e32 v122, v122, v6                               // 00000000F824: 0AF40D7A
	v_mul_f32_e32 v123, v123, v7                               // 00000000F828: 0AF60F7B
	v_mul_f32_e32 v120, v120, v192                             // 00000000F82C: 0AF18178
	v_mul_f32_e32 v121, v121, v193                             // 00000000F830: 0AF38379
	v_mul_f32_e32 v122, v122, v194                             // 00000000F834: 0AF5857A
	v_mul_f32_e32 v123, v123, v195                             // 00000000F838: 0AF7877B
	v_mul_f32_e64 v4, -v124, s6                                // 00000000F83C: D1050004 20000D7C
	v_mul_f32_e64 v5, -v125, s6                                // 00000000F844: D1050005 20000D7D
	v_mul_f32_e64 v6, -v126, s6                                // 00000000F84C: D1050006 20000D7E
	v_mul_f32_e64 v7, -v127, s6                                // 00000000F854: D1050007 20000D7F
	v_exp_f32_e32 v4, v4                                       // 00000000F85C: 7E084104
	v_exp_f32_e32 v5, v5                                       // 00000000F860: 7E0A4105
	v_exp_f32_e32 v6, v6                                       // 00000000F864: 7E0C4106
	v_exp_f32_e32 v7, v7                                       // 00000000F868: 7E0E4107
	v_add_f32_e64 v4, v4, 1.0                                  // 00000000F86C: D1010004 0001E504
	v_add_f32_e64 v5, v5, 1.0                                  // 00000000F874: D1010005 0001E505
	v_add_f32_e64 v6, v6, 1.0                                  // 00000000F87C: D1010006 0001E506
	v_add_f32_e64 v7, v7, 1.0                                  // 00000000F884: D1010007 0001E507
	v_rcp_f32_e32 v4, v4                                       // 00000000F88C: 7E084504
	v_rcp_f32_e32 v5, v5                                       // 00000000F890: 7E0A4505
	v_rcp_f32_e32 v6, v6                                       // 00000000F894: 7E0C4506
	v_rcp_f32_e32 v7, v7                                       // 00000000F898: 7E0E4507
	v_mul_f32_e32 v124, v124, v4                               // 00000000F89C: 0AF8097C
	v_mul_f32_e32 v125, v125, v5                               // 00000000F8A0: 0AFA0B7D
	v_mul_f32_e32 v126, v126, v6                               // 00000000F8A4: 0AFC0D7E
	v_mul_f32_e32 v127, v127, v7                               // 00000000F8A8: 0AFE0F7F
	v_mul_f32_e32 v124, v124, v196                             // 00000000F8AC: 0AF9897C
	v_mul_f32_e32 v125, v125, v197                             // 00000000F8B0: 0AFB8B7D
	v_mul_f32_e32 v126, v126, v198                             // 00000000F8B4: 0AFD8D7E
	v_mul_f32_e32 v127, v127, v199                             // 00000000F8B8: 0AFF8F7F
	v_mul_f32_e64 v4, -v128, s6                                // 00000000F8BC: D1050004 20000D80
	v_mul_f32_e64 v5, -v129, s6                                // 00000000F8C4: D1050005 20000D81
	v_mul_f32_e64 v6, -v130, s6                                // 00000000F8CC: D1050006 20000D82
	v_mul_f32_e64 v7, -v131, s6                                // 00000000F8D4: D1050007 20000D83
	v_exp_f32_e32 v4, v4                                       // 00000000F8DC: 7E084104
	v_exp_f32_e32 v5, v5                                       // 00000000F8E0: 7E0A4105
	v_exp_f32_e32 v6, v6                                       // 00000000F8E4: 7E0C4106
	v_exp_f32_e32 v7, v7                                       // 00000000F8E8: 7E0E4107
	v_add_f32_e64 v4, v4, 1.0                                  // 00000000F8EC: D1010004 0001E504
	v_add_f32_e64 v5, v5, 1.0                                  // 00000000F8F4: D1010005 0001E505
	v_add_f32_e64 v6, v6, 1.0                                  // 00000000F8FC: D1010006 0001E506
	v_add_f32_e64 v7, v7, 1.0                                  // 00000000F904: D1010007 0001E507
	v_rcp_f32_e32 v4, v4                                       // 00000000F90C: 7E084504
	v_rcp_f32_e32 v5, v5                                       // 00000000F910: 7E0A4505
	v_rcp_f32_e32 v6, v6                                       // 00000000F914: 7E0C4506
	v_rcp_f32_e32 v7, v7                                       // 00000000F918: 7E0E4507
	v_mul_f32_e32 v128, v128, v4                               // 00000000F91C: 0B000980
	v_mul_f32_e32 v129, v129, v5                               // 00000000F920: 0B020B81
	v_mul_f32_e32 v130, v130, v6                               // 00000000F924: 0B040D82
	v_mul_f32_e32 v131, v131, v7                               // 00000000F928: 0B060F83
	v_mul_f32_e32 v128, v128, v200                             // 00000000F92C: 0B019180
	v_mul_f32_e32 v129, v129, v201                             // 00000000F930: 0B039381
	v_mul_f32_e32 v130, v130, v202                             // 00000000F934: 0B059582
	v_mul_f32_e32 v131, v131, v203                             // 00000000F938: 0B079783
	v_mul_f32_e64 v4, -v132, s6                                // 00000000F93C: D1050004 20000D84
	v_mul_f32_e64 v5, -v133, s6                                // 00000000F944: D1050005 20000D85
	v_mul_f32_e64 v6, -v134, s6                                // 00000000F94C: D1050006 20000D86
	v_mul_f32_e64 v7, -v135, s6                                // 00000000F954: D1050007 20000D87
	v_exp_f32_e32 v4, v4                                       // 00000000F95C: 7E084104
	v_exp_f32_e32 v5, v5                                       // 00000000F960: 7E0A4105
	v_exp_f32_e32 v6, v6                                       // 00000000F964: 7E0C4106
	v_exp_f32_e32 v7, v7                                       // 00000000F968: 7E0E4107
	v_add_f32_e64 v4, v4, 1.0                                  // 00000000F96C: D1010004 0001E504
	v_add_f32_e64 v5, v5, 1.0                                  // 00000000F974: D1010005 0001E505
	v_add_f32_e64 v6, v6, 1.0                                  // 00000000F97C: D1010006 0001E506
	v_add_f32_e64 v7, v7, 1.0                                  // 00000000F984: D1010007 0001E507
	v_rcp_f32_e32 v4, v4                                       // 00000000F98C: 7E084504
	v_rcp_f32_e32 v5, v5                                       // 00000000F990: 7E0A4505
	v_rcp_f32_e32 v6, v6                                       // 00000000F994: 7E0C4506
	v_rcp_f32_e32 v7, v7                                       // 00000000F998: 7E0E4507
	v_mul_f32_e32 v132, v132, v4                               // 00000000F99C: 0B080984
	v_mul_f32_e32 v133, v133, v5                               // 00000000F9A0: 0B0A0B85
	v_mul_f32_e32 v134, v134, v6                               // 00000000F9A4: 0B0C0D86
	v_mul_f32_e32 v135, v135, v7                               // 00000000F9A8: 0B0E0F87
	v_mul_f32_e32 v132, v132, v204                             // 00000000F9AC: 0B099984
	v_mul_f32_e32 v133, v133, v205                             // 00000000F9B0: 0B0B9B85
	v_mul_f32_e32 v134, v134, v206                             // 00000000F9B4: 0B0D9D86
	v_mul_f32_e32 v135, v135, v207                             // 00000000F9B8: 0B0F9F87
	v_mul_f32_e64 v4, -v136, s6                                // 00000000F9BC: D1050004 20000D88
	v_mul_f32_e64 v5, -v137, s6                                // 00000000F9C4: D1050005 20000D89
	v_mul_f32_e64 v6, -v138, s6                                // 00000000F9CC: D1050006 20000D8A
	v_mul_f32_e64 v7, -v139, s6                                // 00000000F9D4: D1050007 20000D8B
	v_exp_f32_e32 v4, v4                                       // 00000000F9DC: 7E084104
	v_exp_f32_e32 v5, v5                                       // 00000000F9E0: 7E0A4105
	v_exp_f32_e32 v6, v6                                       // 00000000F9E4: 7E0C4106
	v_exp_f32_e32 v7, v7                                       // 00000000F9E8: 7E0E4107
	v_add_f32_e64 v4, v4, 1.0                                  // 00000000F9EC: D1010004 0001E504
	v_add_f32_e64 v5, v5, 1.0                                  // 00000000F9F4: D1010005 0001E505
	v_add_f32_e64 v6, v6, 1.0                                  // 00000000F9FC: D1010006 0001E506
	v_add_f32_e64 v7, v7, 1.0                                  // 00000000FA04: D1010007 0001E507
	v_rcp_f32_e32 v4, v4                                       // 00000000FA0C: 7E084504
	v_rcp_f32_e32 v5, v5                                       // 00000000FA10: 7E0A4505
	v_rcp_f32_e32 v6, v6                                       // 00000000FA14: 7E0C4506
	v_rcp_f32_e32 v7, v7                                       // 00000000FA18: 7E0E4507
	v_mul_f32_e32 v136, v136, v4                               // 00000000FA1C: 0B100988
	v_mul_f32_e32 v137, v137, v5                               // 00000000FA20: 0B120B89
	v_mul_f32_e32 v138, v138, v6                               // 00000000FA24: 0B140D8A
	v_mul_f32_e32 v139, v139, v7                               // 00000000FA28: 0B160F8B
	v_mul_f32_e32 v136, v136, v208                             // 00000000FA2C: 0B11A188
	v_mul_f32_e32 v137, v137, v209                             // 00000000FA30: 0B13A389
	v_mul_f32_e32 v138, v138, v210                             // 00000000FA34: 0B15A58A
	v_mul_f32_e32 v139, v139, v211                             // 00000000FA38: 0B17A78B
	v_mul_f32_e64 v4, -v140, s6                                // 00000000FA3C: D1050004 20000D8C
	v_mul_f32_e64 v5, -v141, s6                                // 00000000FA44: D1050005 20000D8D
	v_mul_f32_e64 v6, -v142, s6                                // 00000000FA4C: D1050006 20000D8E
	v_mul_f32_e64 v7, -v143, s6                                // 00000000FA54: D1050007 20000D8F
	v_exp_f32_e32 v4, v4                                       // 00000000FA5C: 7E084104
	v_exp_f32_e32 v5, v5                                       // 00000000FA60: 7E0A4105
	v_exp_f32_e32 v6, v6                                       // 00000000FA64: 7E0C4106
	v_exp_f32_e32 v7, v7                                       // 00000000FA68: 7E0E4107
	v_add_f32_e64 v4, v4, 1.0                                  // 00000000FA6C: D1010004 0001E504
	v_add_f32_e64 v5, v5, 1.0                                  // 00000000FA74: D1010005 0001E505
	v_add_f32_e64 v6, v6, 1.0                                  // 00000000FA7C: D1010006 0001E506
	v_add_f32_e64 v7, v7, 1.0                                  // 00000000FA84: D1010007 0001E507
	v_rcp_f32_e32 v4, v4                                       // 00000000FA8C: 7E084504
	v_rcp_f32_e32 v5, v5                                       // 00000000FA90: 7E0A4505
	v_rcp_f32_e32 v6, v6                                       // 00000000FA94: 7E0C4506
	v_rcp_f32_e32 v7, v7                                       // 00000000FA98: 7E0E4507
	v_mul_f32_e32 v140, v140, v4                               // 00000000FA9C: 0B18098C
	v_mul_f32_e32 v141, v141, v5                               // 00000000FAA0: 0B1A0B8D
	v_mul_f32_e32 v142, v142, v6                               // 00000000FAA4: 0B1C0D8E
	v_mul_f32_e32 v143, v143, v7                               // 00000000FAA8: 0B1E0F8F
	v_mul_f32_e32 v140, v140, v212                             // 00000000FAAC: 0B19A98C
	v_mul_f32_e32 v141, v141, v213                             // 00000000FAB0: 0B1BAB8D
	v_mul_f32_e32 v142, v142, v214                             // 00000000FAB4: 0B1DAD8E
	v_mul_f32_e32 v143, v143, v215                             // 00000000FAB8: 0B1FAF8F
	v_mul_f32_e64 v4, -v144, s6                                // 00000000FABC: D1050004 20000D90
	v_mul_f32_e64 v5, -v145, s6                                // 00000000FAC4: D1050005 20000D91
	v_mul_f32_e64 v6, -v146, s6                                // 00000000FACC: D1050006 20000D92
	v_mul_f32_e64 v7, -v147, s6                                // 00000000FAD4: D1050007 20000D93
	v_exp_f32_e32 v4, v4                                       // 00000000FADC: 7E084104
	v_exp_f32_e32 v5, v5                                       // 00000000FAE0: 7E0A4105
	v_exp_f32_e32 v6, v6                                       // 00000000FAE4: 7E0C4106
	v_exp_f32_e32 v7, v7                                       // 00000000FAE8: 7E0E4107
	v_add_f32_e64 v4, v4, 1.0                                  // 00000000FAEC: D1010004 0001E504
	v_add_f32_e64 v5, v5, 1.0                                  // 00000000FAF4: D1010005 0001E505
	v_add_f32_e64 v6, v6, 1.0                                  // 00000000FAFC: D1010006 0001E506
	v_add_f32_e64 v7, v7, 1.0                                  // 00000000FB04: D1010007 0001E507
	v_rcp_f32_e32 v4, v4                                       // 00000000FB0C: 7E084504
	v_rcp_f32_e32 v5, v5                                       // 00000000FB10: 7E0A4505
	v_rcp_f32_e32 v6, v6                                       // 00000000FB14: 7E0C4506
	v_rcp_f32_e32 v7, v7                                       // 00000000FB18: 7E0E4507
	v_mul_f32_e32 v144, v144, v4                               // 00000000FB1C: 0B200990
	v_mul_f32_e32 v145, v145, v5                               // 00000000FB20: 0B220B91
	v_mul_f32_e32 v146, v146, v6                               // 00000000FB24: 0B240D92
	v_mul_f32_e32 v147, v147, v7                               // 00000000FB28: 0B260F93
	v_mul_f32_e32 v144, v144, v216                             // 00000000FB2C: 0B21B190
	v_mul_f32_e32 v145, v145, v217                             // 00000000FB30: 0B23B391
	v_mul_f32_e32 v146, v146, v218                             // 00000000FB34: 0B25B592
	v_mul_f32_e32 v147, v147, v219                             // 00000000FB38: 0B27B793
	v_mul_f32_e64 v4, -v148, s6                                // 00000000FB3C: D1050004 20000D94
	v_mul_f32_e64 v5, -v149, s6                                // 00000000FB44: D1050005 20000D95
	v_mul_f32_e64 v6, -v150, s6                                // 00000000FB4C: D1050006 20000D96
	v_mul_f32_e64 v7, -v151, s6                                // 00000000FB54: D1050007 20000D97
	v_exp_f32_e32 v4, v4                                       // 00000000FB5C: 7E084104
	v_exp_f32_e32 v5, v5                                       // 00000000FB60: 7E0A4105
	v_exp_f32_e32 v6, v6                                       // 00000000FB64: 7E0C4106
	v_exp_f32_e32 v7, v7                                       // 00000000FB68: 7E0E4107
	v_add_f32_e64 v4, v4, 1.0                                  // 00000000FB6C: D1010004 0001E504
	v_add_f32_e64 v5, v5, 1.0                                  // 00000000FB74: D1010005 0001E505
	v_add_f32_e64 v6, v6, 1.0                                  // 00000000FB7C: D1010006 0001E506
	v_add_f32_e64 v7, v7, 1.0                                  // 00000000FB84: D1010007 0001E507
	v_rcp_f32_e32 v4, v4                                       // 00000000FB8C: 7E084504
	v_rcp_f32_e32 v5, v5                                       // 00000000FB90: 7E0A4505
	v_rcp_f32_e32 v6, v6                                       // 00000000FB94: 7E0C4506
	v_rcp_f32_e32 v7, v7                                       // 00000000FB98: 7E0E4507
	v_mul_f32_e32 v148, v148, v4                               // 00000000FB9C: 0B280994
	v_mul_f32_e32 v149, v149, v5                               // 00000000FBA0: 0B2A0B95
	v_mul_f32_e32 v150, v150, v6                               // 00000000FBA4: 0B2C0D96
	v_mul_f32_e32 v151, v151, v7                               // 00000000FBA8: 0B2E0F97
	v_mul_f32_e32 v148, v148, v220                             // 00000000FBAC: 0B29B994
	v_mul_f32_e32 v149, v149, v221                             // 00000000FBB0: 0B2BBB95
	v_mul_f32_e32 v150, v150, v222                             // 00000000FBB4: 0B2DBD96
	v_mul_f32_e32 v151, v151, v223                             // 00000000FBB8: 0B2FBF97
	v_mul_f32_e64 v4, -v152, s6                                // 00000000FBBC: D1050004 20000D98
	v_mul_f32_e64 v5, -v153, s6                                // 00000000FBC4: D1050005 20000D99
	v_mul_f32_e64 v6, -v154, s6                                // 00000000FBCC: D1050006 20000D9A
	v_mul_f32_e64 v7, -v155, s6                                // 00000000FBD4: D1050007 20000D9B
	v_exp_f32_e32 v4, v4                                       // 00000000FBDC: 7E084104
	v_exp_f32_e32 v5, v5                                       // 00000000FBE0: 7E0A4105
	v_exp_f32_e32 v6, v6                                       // 00000000FBE4: 7E0C4106
	v_exp_f32_e32 v7, v7                                       // 00000000FBE8: 7E0E4107
	v_add_f32_e64 v4, v4, 1.0                                  // 00000000FBEC: D1010004 0001E504
	v_add_f32_e64 v5, v5, 1.0                                  // 00000000FBF4: D1010005 0001E505
	v_add_f32_e64 v6, v6, 1.0                                  // 00000000FBFC: D1010006 0001E506
	v_add_f32_e64 v7, v7, 1.0                                  // 00000000FC04: D1010007 0001E507
	v_rcp_f32_e32 v4, v4                                       // 00000000FC0C: 7E084504
	v_rcp_f32_e32 v5, v5                                       // 00000000FC10: 7E0A4505
	v_rcp_f32_e32 v6, v6                                       // 00000000FC14: 7E0C4506
	v_rcp_f32_e32 v7, v7                                       // 00000000FC18: 7E0E4507
	v_mul_f32_e32 v152, v152, v4                               // 00000000FC1C: 0B300998
	v_mul_f32_e32 v153, v153, v5                               // 00000000FC20: 0B320B99
	v_mul_f32_e32 v154, v154, v6                               // 00000000FC24: 0B340D9A
	v_mul_f32_e32 v155, v155, v7                               // 00000000FC28: 0B360F9B
	v_mul_f32_e32 v152, v152, v224                             // 00000000FC2C: 0B31C198
	v_mul_f32_e32 v153, v153, v225                             // 00000000FC30: 0B33C399
	v_mul_f32_e32 v154, v154, v226                             // 00000000FC34: 0B35C59A
	v_mul_f32_e32 v155, v155, v227                             // 00000000FC38: 0B37C79B
	v_mul_f32_e64 v4, -v156, s6                                // 00000000FC3C: D1050004 20000D9C
	v_mul_f32_e64 v5, -v157, s6                                // 00000000FC44: D1050005 20000D9D
	v_mul_f32_e64 v6, -v158, s6                                // 00000000FC4C: D1050006 20000D9E
	v_mul_f32_e64 v7, -v159, s6                                // 00000000FC54: D1050007 20000D9F
	v_exp_f32_e32 v4, v4                                       // 00000000FC5C: 7E084104
	v_exp_f32_e32 v5, v5                                       // 00000000FC60: 7E0A4105
	v_exp_f32_e32 v6, v6                                       // 00000000FC64: 7E0C4106
	v_exp_f32_e32 v7, v7                                       // 00000000FC68: 7E0E4107
	v_add_f32_e64 v4, v4, 1.0                                  // 00000000FC6C: D1010004 0001E504
	v_add_f32_e64 v5, v5, 1.0                                  // 00000000FC74: D1010005 0001E505
	v_add_f32_e64 v6, v6, 1.0                                  // 00000000FC7C: D1010006 0001E506
	v_add_f32_e64 v7, v7, 1.0                                  // 00000000FC84: D1010007 0001E507
	v_rcp_f32_e32 v4, v4                                       // 00000000FC8C: 7E084504
	v_rcp_f32_e32 v5, v5                                       // 00000000FC90: 7E0A4505
	v_rcp_f32_e32 v6, v6                                       // 00000000FC94: 7E0C4506
	v_rcp_f32_e32 v7, v7                                       // 00000000FC98: 7E0E4507
	v_mul_f32_e32 v156, v156, v4                               // 00000000FC9C: 0B38099C
	v_mul_f32_e32 v157, v157, v5                               // 00000000FCA0: 0B3A0B9D
	v_mul_f32_e32 v158, v158, v6                               // 00000000FCA4: 0B3C0D9E
	v_mul_f32_e32 v159, v159, v7                               // 00000000FCA8: 0B3E0F9F
	v_mul_f32_e32 v156, v156, v228                             // 00000000FCAC: 0B39C99C
	v_mul_f32_e32 v157, v157, v229                             // 00000000FCB0: 0B3BCB9D
	v_mul_f32_e32 v158, v158, v230                             // 00000000FCB4: 0B3DCD9E
	v_mul_f32_e32 v159, v159, v231                             // 00000000FCB8: 0B3FCF9F

000000000000fcbc <label_34B2>:
	v_cmp_u_f32_e64 s[46:47], v88, v88                         // 00000000FCBC: D048002E 0002B158
	v_add3_u32 v16, v88, v19, 1                                // 00000000FCC4: D1FF0010 02062758
	v_cndmask_b32_e64 v4, v16, v18, s[46:47]                   // 00000000FCCC: D1000004 00BA2510
	v_cmp_u_f32_e64 s[46:47], v89, v89                         // 00000000FCD4: D048002E 0002B359
	v_add3_u32 v16, v89, v19, 1                                // 00000000FCDC: D1FF0010 02062759
	v_cndmask_b32_e64 v5, v16, v18, s[46:47]                   // 00000000FCE4: D1000005 00BA2510
	v_perm_b32 v88, v5, v4, s52                                // 00000000FCEC: D1ED0058 00D20905
	v_cmp_u_f32_e64 s[46:47], v90, v90                         // 00000000FCF4: D048002E 0002B55A
	v_add3_u32 v16, v90, v19, 1                                // 00000000FCFC: D1FF0010 0206275A
	v_cndmask_b32_e64 v4, v16, v18, s[46:47]                   // 00000000FD04: D1000004 00BA2510
	v_cmp_u_f32_e64 s[46:47], v91, v91                         // 00000000FD0C: D048002E 0002B75B
	v_add3_u32 v16, v91, v19, 1                                // 00000000FD14: D1FF0010 0206275B
	v_cndmask_b32_e64 v5, v16, v18, s[46:47]                   // 00000000FD1C: D1000005 00BA2510
	v_perm_b32 v89, v5, v4, s52                                // 00000000FD24: D1ED0059 00D20905
	v_cmp_u_f32_e64 s[46:47], v92, v92                         // 00000000FD2C: D048002E 0002B95C
	v_add3_u32 v16, v92, v19, 1                                // 00000000FD34: D1FF0010 0206275C
	v_cndmask_b32_e64 v4, v16, v18, s[46:47]                   // 00000000FD3C: D1000004 00BA2510
	v_cmp_u_f32_e64 s[46:47], v93, v93                         // 00000000FD44: D048002E 0002BB5D
	v_add3_u32 v16, v93, v19, 1                                // 00000000FD4C: D1FF0010 0206275D
	v_cndmask_b32_e64 v5, v16, v18, s[46:47]                   // 00000000FD54: D1000005 00BA2510
	v_perm_b32 v90, v5, v4, s52                                // 00000000FD5C: D1ED005A 00D20905
	v_cmp_u_f32_e64 s[46:47], v94, v94                         // 00000000FD64: D048002E 0002BD5E
	v_add3_u32 v16, v94, v19, 1                                // 00000000FD6C: D1FF0010 0206275E
	v_cndmask_b32_e64 v4, v16, v18, s[46:47]                   // 00000000FD74: D1000004 00BA2510
	v_cmp_u_f32_e64 s[46:47], v95, v95                         // 00000000FD7C: D048002E 0002BF5F
	v_add3_u32 v16, v95, v19, 1                                // 00000000FD84: D1FF0010 0206275F
	v_cndmask_b32_e64 v5, v16, v18, s[46:47]                   // 00000000FD8C: D1000005 00BA2510
	v_perm_b32 v91, v5, v4, s52                                // 00000000FD94: D1ED005B 00D20905
	v_cmp_u_f32_e64 s[46:47], v96, v96                         // 00000000FD9C: D048002E 0002C160
	v_add3_u32 v16, v96, v19, 1                                // 00000000FDA4: D1FF0010 02062760
	v_cndmask_b32_e64 v4, v16, v18, s[46:47]                   // 00000000FDAC: D1000004 00BA2510
	v_cmp_u_f32_e64 s[46:47], v97, v97                         // 00000000FDB4: D048002E 0002C361
	v_add3_u32 v16, v97, v19, 1                                // 00000000FDBC: D1FF0010 02062761
	v_cndmask_b32_e64 v5, v16, v18, s[46:47]                   // 00000000FDC4: D1000005 00BA2510
	v_perm_b32 v92, v5, v4, s52                                // 00000000FDCC: D1ED005C 00D20905
	v_cmp_u_f32_e64 s[46:47], v98, v98                         // 00000000FDD4: D048002E 0002C562
	v_add3_u32 v16, v98, v19, 1                                // 00000000FDDC: D1FF0010 02062762
	v_cndmask_b32_e64 v4, v16, v18, s[46:47]                   // 00000000FDE4: D1000004 00BA2510
	v_cmp_u_f32_e64 s[46:47], v99, v99                         // 00000000FDEC: D048002E 0002C763
	v_add3_u32 v16, v99, v19, 1                                // 00000000FDF4: D1FF0010 02062763
	v_cndmask_b32_e64 v5, v16, v18, s[46:47]                   // 00000000FDFC: D1000005 00BA2510
	v_perm_b32 v93, v5, v4, s52                                // 00000000FE04: D1ED005D 00D20905
	v_cmp_u_f32_e64 s[46:47], v100, v100                       // 00000000FE0C: D048002E 0002C964
	v_add3_u32 v16, v100, v19, 1                               // 00000000FE14: D1FF0010 02062764
	v_cndmask_b32_e64 v4, v16, v18, s[46:47]                   // 00000000FE1C: D1000004 00BA2510
	v_cmp_u_f32_e64 s[46:47], v101, v101                       // 00000000FE24: D048002E 0002CB65
	v_add3_u32 v16, v101, v19, 1                               // 00000000FE2C: D1FF0010 02062765
	v_cndmask_b32_e64 v5, v16, v18, s[46:47]                   // 00000000FE34: D1000005 00BA2510
	v_perm_b32 v94, v5, v4, s52                                // 00000000FE3C: D1ED005E 00D20905
	v_cmp_u_f32_e64 s[46:47], v102, v102                       // 00000000FE44: D048002E 0002CD66
	v_add3_u32 v16, v102, v19, 1                               // 00000000FE4C: D1FF0010 02062766
	v_cndmask_b32_e64 v4, v16, v18, s[46:47]                   // 00000000FE54: D1000004 00BA2510
	v_cmp_u_f32_e64 s[46:47], v103, v103                       // 00000000FE5C: D048002E 0002CF67
	v_add3_u32 v16, v103, v19, 1                               // 00000000FE64: D1FF0010 02062767
	v_cndmask_b32_e64 v5, v16, v18, s[46:47]                   // 00000000FE6C: D1000005 00BA2510
	v_perm_b32 v95, v5, v4, s52                                // 00000000FE74: D1ED005F 00D20905
	v_cmp_u_f32_e64 s[46:47], v104, v104                       // 00000000FE7C: D048002E 0002D168
	v_add3_u32 v16, v104, v19, 1                               // 00000000FE84: D1FF0010 02062768
	v_cndmask_b32_e64 v4, v16, v18, s[46:47]                   // 00000000FE8C: D1000004 00BA2510
	v_cmp_u_f32_e64 s[46:47], v105, v105                       // 00000000FE94: D048002E 0002D369
	v_add3_u32 v16, v105, v19, 1                               // 00000000FE9C: D1FF0010 02062769
	v_cndmask_b32_e64 v5, v16, v18, s[46:47]                   // 00000000FEA4: D1000005 00BA2510
	v_perm_b32 v96, v5, v4, s52                                // 00000000FEAC: D1ED0060 00D20905
	v_cmp_u_f32_e64 s[46:47], v106, v106                       // 00000000FEB4: D048002E 0002D56A
	v_add3_u32 v16, v106, v19, 1                               // 00000000FEBC: D1FF0010 0206276A
	v_cndmask_b32_e64 v4, v16, v18, s[46:47]                   // 00000000FEC4: D1000004 00BA2510
	v_cmp_u_f32_e64 s[46:47], v107, v107                       // 00000000FECC: D048002E 0002D76B
	v_add3_u32 v16, v107, v19, 1                               // 00000000FED4: D1FF0010 0206276B
	v_cndmask_b32_e64 v5, v16, v18, s[46:47]                   // 00000000FEDC: D1000005 00BA2510
	v_perm_b32 v97, v5, v4, s52                                // 00000000FEE4: D1ED0061 00D20905
	v_cmp_u_f32_e64 s[46:47], v108, v108                       // 00000000FEEC: D048002E 0002D96C
	v_add3_u32 v16, v108, v19, 1                               // 00000000FEF4: D1FF0010 0206276C
	v_cndmask_b32_e64 v4, v16, v18, s[46:47]                   // 00000000FEFC: D1000004 00BA2510
	v_cmp_u_f32_e64 s[46:47], v109, v109                       // 00000000FF04: D048002E 0002DB6D
	v_add3_u32 v16, v109, v19, 1                               // 00000000FF0C: D1FF0010 0206276D
	v_cndmask_b32_e64 v5, v16, v18, s[46:47]                   // 00000000FF14: D1000005 00BA2510
	v_perm_b32 v98, v5, v4, s52                                // 00000000FF1C: D1ED0062 00D20905
	v_cmp_u_f32_e64 s[46:47], v110, v110                       // 00000000FF24: D048002E 0002DD6E
	v_add3_u32 v16, v110, v19, 1                               // 00000000FF2C: D1FF0010 0206276E
	v_cndmask_b32_e64 v4, v16, v18, s[46:47]                   // 00000000FF34: D1000004 00BA2510
	v_cmp_u_f32_e64 s[46:47], v111, v111                       // 00000000FF3C: D048002E 0002DF6F
	v_add3_u32 v16, v111, v19, 1                               // 00000000FF44: D1FF0010 0206276F
	v_cndmask_b32_e64 v5, v16, v18, s[46:47]                   // 00000000FF4C: D1000005 00BA2510
	v_perm_b32 v99, v5, v4, s52                                // 00000000FF54: D1ED0063 00D20905
	v_cmp_u_f32_e64 s[46:47], v112, v112                       // 00000000FF5C: D048002E 0002E170
	v_add3_u32 v16, v112, v19, 1                               // 00000000FF64: D1FF0010 02062770
	v_cndmask_b32_e64 v4, v16, v18, s[46:47]                   // 00000000FF6C: D1000004 00BA2510
	v_cmp_u_f32_e64 s[46:47], v113, v113                       // 00000000FF74: D048002E 0002E371
	v_add3_u32 v16, v113, v19, 1                               // 00000000FF7C: D1FF0010 02062771
	v_cndmask_b32_e64 v5, v16, v18, s[46:47]                   // 00000000FF84: D1000005 00BA2510
	v_perm_b32 v100, v5, v4, s52                               // 00000000FF8C: D1ED0064 00D20905
	v_cmp_u_f32_e64 s[46:47], v114, v114                       // 00000000FF94: D048002E 0002E572
	v_add3_u32 v16, v114, v19, 1                               // 00000000FF9C: D1FF0010 02062772
	v_cndmask_b32_e64 v4, v16, v18, s[46:47]                   // 00000000FFA4: D1000004 00BA2510
	v_cmp_u_f32_e64 s[46:47], v115, v115                       // 00000000FFAC: D048002E 0002E773
	v_add3_u32 v16, v115, v19, 1                               // 00000000FFB4: D1FF0010 02062773
	v_cndmask_b32_e64 v5, v16, v18, s[46:47]                   // 00000000FFBC: D1000005 00BA2510
	v_perm_b32 v101, v5, v4, s52                               // 00000000FFC4: D1ED0065 00D20905
	v_cmp_u_f32_e64 s[46:47], v116, v116                       // 00000000FFCC: D048002E 0002E974
	v_add3_u32 v16, v116, v19, 1                               // 00000000FFD4: D1FF0010 02062774
	v_cndmask_b32_e64 v4, v16, v18, s[46:47]                   // 00000000FFDC: D1000004 00BA2510
	v_cmp_u_f32_e64 s[46:47], v117, v117                       // 00000000FFE4: D048002E 0002EB75
	v_add3_u32 v16, v117, v19, 1                               // 00000000FFEC: D1FF0010 02062775
	v_cndmask_b32_e64 v5, v16, v18, s[46:47]                   // 00000000FFF4: D1000005 00BA2510
	v_perm_b32 v102, v5, v4, s52                               // 00000000FFFC: D1ED0066 00D20905
	v_cmp_u_f32_e64 s[46:47], v118, v118                       // 000000010004: D048002E 0002ED76
	v_add3_u32 v16, v118, v19, 1                               // 00000001000C: D1FF0010 02062776
	v_cndmask_b32_e64 v4, v16, v18, s[46:47]                   // 000000010014: D1000004 00BA2510
	v_cmp_u_f32_e64 s[46:47], v119, v119                       // 00000001001C: D048002E 0002EF77
	v_add3_u32 v16, v119, v19, 1                               // 000000010024: D1FF0010 02062777
	v_cndmask_b32_e64 v5, v16, v18, s[46:47]                   // 00000001002C: D1000005 00BA2510
	v_perm_b32 v103, v5, v4, s52                               // 000000010034: D1ED0067 00D20905
	v_cmp_u_f32_e64 s[46:47], v120, v120                       // 00000001003C: D048002E 0002F178
	v_add3_u32 v16, v120, v19, 1                               // 000000010044: D1FF0010 02062778
	v_cndmask_b32_e64 v4, v16, v18, s[46:47]                   // 00000001004C: D1000004 00BA2510
	v_cmp_u_f32_e64 s[46:47], v121, v121                       // 000000010054: D048002E 0002F379
	v_add3_u32 v16, v121, v19, 1                               // 00000001005C: D1FF0010 02062779
	v_cndmask_b32_e64 v5, v16, v18, s[46:47]                   // 000000010064: D1000005 00BA2510
	v_perm_b32 v104, v5, v4, s52                               // 00000001006C: D1ED0068 00D20905
	v_cmp_u_f32_e64 s[46:47], v122, v122                       // 000000010074: D048002E 0002F57A
	v_add3_u32 v16, v122, v19, 1                               // 00000001007C: D1FF0010 0206277A
	v_cndmask_b32_e64 v4, v16, v18, s[46:47]                   // 000000010084: D1000004 00BA2510
	v_cmp_u_f32_e64 s[46:47], v123, v123                       // 00000001008C: D048002E 0002F77B
	v_add3_u32 v16, v123, v19, 1                               // 000000010094: D1FF0010 0206277B
	v_cndmask_b32_e64 v5, v16, v18, s[46:47]                   // 00000001009C: D1000005 00BA2510
	v_perm_b32 v105, v5, v4, s52                               // 0000000100A4: D1ED0069 00D20905
	v_cmp_u_f32_e64 s[46:47], v124, v124                       // 0000000100AC: D048002E 0002F97C
	v_add3_u32 v16, v124, v19, 1                               // 0000000100B4: D1FF0010 0206277C
	v_cndmask_b32_e64 v4, v16, v18, s[46:47]                   // 0000000100BC: D1000004 00BA2510
	v_cmp_u_f32_e64 s[46:47], v125, v125                       // 0000000100C4: D048002E 0002FB7D
	v_add3_u32 v16, v125, v19, 1                               // 0000000100CC: D1FF0010 0206277D
	v_cndmask_b32_e64 v5, v16, v18, s[46:47]                   // 0000000100D4: D1000005 00BA2510
	v_perm_b32 v106, v5, v4, s52                               // 0000000100DC: D1ED006A 00D20905
	v_cmp_u_f32_e64 s[46:47], v126, v126                       // 0000000100E4: D048002E 0002FD7E
	v_add3_u32 v16, v126, v19, 1                               // 0000000100EC: D1FF0010 0206277E
	v_cndmask_b32_e64 v4, v16, v18, s[46:47]                   // 0000000100F4: D1000004 00BA2510
	v_cmp_u_f32_e64 s[46:47], v127, v127                       // 0000000100FC: D048002E 0002FF7F
	v_add3_u32 v16, v127, v19, 1                               // 000000010104: D1FF0010 0206277F
	v_cndmask_b32_e64 v5, v16, v18, s[46:47]                   // 00000001010C: D1000005 00BA2510
	v_perm_b32 v107, v5, v4, s52                               // 000000010114: D1ED006B 00D20905
	v_cmp_u_f32_e64 s[46:47], v128, v128                       // 00000001011C: D048002E 00030180
	v_add3_u32 v16, v128, v19, 1                               // 000000010124: D1FF0010 02062780
	v_cndmask_b32_e64 v4, v16, v18, s[46:47]                   // 00000001012C: D1000004 00BA2510
	v_cmp_u_f32_e64 s[46:47], v129, v129                       // 000000010134: D048002E 00030381
	v_add3_u32 v16, v129, v19, 1                               // 00000001013C: D1FF0010 02062781
	v_cndmask_b32_e64 v5, v16, v18, s[46:47]                   // 000000010144: D1000005 00BA2510
	v_perm_b32 v108, v5, v4, s52                               // 00000001014C: D1ED006C 00D20905
	v_cmp_u_f32_e64 s[46:47], v130, v130                       // 000000010154: D048002E 00030582
	v_add3_u32 v16, v130, v19, 1                               // 00000001015C: D1FF0010 02062782
	v_cndmask_b32_e64 v4, v16, v18, s[46:47]                   // 000000010164: D1000004 00BA2510
	v_cmp_u_f32_e64 s[46:47], v131, v131                       // 00000001016C: D048002E 00030783
	v_add3_u32 v16, v131, v19, 1                               // 000000010174: D1FF0010 02062783
	v_cndmask_b32_e64 v5, v16, v18, s[46:47]                   // 00000001017C: D1000005 00BA2510
	v_perm_b32 v109, v5, v4, s52                               // 000000010184: D1ED006D 00D20905
	v_cmp_u_f32_e64 s[46:47], v132, v132                       // 00000001018C: D048002E 00030984
	v_add3_u32 v16, v132, v19, 1                               // 000000010194: D1FF0010 02062784
	v_cndmask_b32_e64 v4, v16, v18, s[46:47]                   // 00000001019C: D1000004 00BA2510
	v_cmp_u_f32_e64 s[46:47], v133, v133                       // 0000000101A4: D048002E 00030B85
	v_add3_u32 v16, v133, v19, 1                               // 0000000101AC: D1FF0010 02062785
	v_cndmask_b32_e64 v5, v16, v18, s[46:47]                   // 0000000101B4: D1000005 00BA2510
	v_perm_b32 v110, v5, v4, s52                               // 0000000101BC: D1ED006E 00D20905
	v_cmp_u_f32_e64 s[46:47], v134, v134                       // 0000000101C4: D048002E 00030D86
	v_add3_u32 v16, v134, v19, 1                               // 0000000101CC: D1FF0010 02062786
	v_cndmask_b32_e64 v4, v16, v18, s[46:47]                   // 0000000101D4: D1000004 00BA2510
	v_cmp_u_f32_e64 s[46:47], v135, v135                       // 0000000101DC: D048002E 00030F87
	v_add3_u32 v16, v135, v19, 1                               // 0000000101E4: D1FF0010 02062787
	v_cndmask_b32_e64 v5, v16, v18, s[46:47]                   // 0000000101EC: D1000005 00BA2510
	v_perm_b32 v111, v5, v4, s52                               // 0000000101F4: D1ED006F 00D20905
	v_cmp_u_f32_e64 s[46:47], v136, v136                       // 0000000101FC: D048002E 00031188
	v_add3_u32 v16, v136, v19, 1                               // 000000010204: D1FF0010 02062788
	v_cndmask_b32_e64 v4, v16, v18, s[46:47]                   // 00000001020C: D1000004 00BA2510
	v_cmp_u_f32_e64 s[46:47], v137, v137                       // 000000010214: D048002E 00031389
	v_add3_u32 v16, v137, v19, 1                               // 00000001021C: D1FF0010 02062789
	v_cndmask_b32_e64 v5, v16, v18, s[46:47]                   // 000000010224: D1000005 00BA2510
	v_perm_b32 v112, v5, v4, s52                               // 00000001022C: D1ED0070 00D20905
	v_cmp_u_f32_e64 s[46:47], v138, v138                       // 000000010234: D048002E 0003158A
	v_add3_u32 v16, v138, v19, 1                               // 00000001023C: D1FF0010 0206278A
	v_cndmask_b32_e64 v4, v16, v18, s[46:47]                   // 000000010244: D1000004 00BA2510
	v_cmp_u_f32_e64 s[46:47], v139, v139                       // 00000001024C: D048002E 0003178B
	v_add3_u32 v16, v139, v19, 1                               // 000000010254: D1FF0010 0206278B
	v_cndmask_b32_e64 v5, v16, v18, s[46:47]                   // 00000001025C: D1000005 00BA2510
	v_perm_b32 v113, v5, v4, s52                               // 000000010264: D1ED0071 00D20905
	v_cmp_u_f32_e64 s[46:47], v140, v140                       // 00000001026C: D048002E 0003198C
	v_add3_u32 v16, v140, v19, 1                               // 000000010274: D1FF0010 0206278C
	v_cndmask_b32_e64 v4, v16, v18, s[46:47]                   // 00000001027C: D1000004 00BA2510
	v_cmp_u_f32_e64 s[46:47], v141, v141                       // 000000010284: D048002E 00031B8D
	v_add3_u32 v16, v141, v19, 1                               // 00000001028C: D1FF0010 0206278D
	v_cndmask_b32_e64 v5, v16, v18, s[46:47]                   // 000000010294: D1000005 00BA2510
	v_perm_b32 v114, v5, v4, s52                               // 00000001029C: D1ED0072 00D20905
	v_cmp_u_f32_e64 s[46:47], v142, v142                       // 0000000102A4: D048002E 00031D8E
	v_add3_u32 v16, v142, v19, 1                               // 0000000102AC: D1FF0010 0206278E
	v_cndmask_b32_e64 v4, v16, v18, s[46:47]                   // 0000000102B4: D1000004 00BA2510
	v_cmp_u_f32_e64 s[46:47], v143, v143                       // 0000000102BC: D048002E 00031F8F
	v_add3_u32 v16, v143, v19, 1                               // 0000000102C4: D1FF0010 0206278F
	v_cndmask_b32_e64 v5, v16, v18, s[46:47]                   // 0000000102CC: D1000005 00BA2510
	v_perm_b32 v115, v5, v4, s52                               // 0000000102D4: D1ED0073 00D20905
	v_cmp_u_f32_e64 s[46:47], v144, v144                       // 0000000102DC: D048002E 00032190
	v_add3_u32 v16, v144, v19, 1                               // 0000000102E4: D1FF0010 02062790
	v_cndmask_b32_e64 v4, v16, v18, s[46:47]                   // 0000000102EC: D1000004 00BA2510
	v_cmp_u_f32_e64 s[46:47], v145, v145                       // 0000000102F4: D048002E 00032391
	v_add3_u32 v16, v145, v19, 1                               // 0000000102FC: D1FF0010 02062791
	v_cndmask_b32_e64 v5, v16, v18, s[46:47]                   // 000000010304: D1000005 00BA2510
	v_perm_b32 v116, v5, v4, s52                               // 00000001030C: D1ED0074 00D20905
	v_cmp_u_f32_e64 s[46:47], v146, v146                       // 000000010314: D048002E 00032592
	v_add3_u32 v16, v146, v19, 1                               // 00000001031C: D1FF0010 02062792
	v_cndmask_b32_e64 v4, v16, v18, s[46:47]                   // 000000010324: D1000004 00BA2510
	v_cmp_u_f32_e64 s[46:47], v147, v147                       // 00000001032C: D048002E 00032793
	v_add3_u32 v16, v147, v19, 1                               // 000000010334: D1FF0010 02062793
	v_cndmask_b32_e64 v5, v16, v18, s[46:47]                   // 00000001033C: D1000005 00BA2510
	v_perm_b32 v117, v5, v4, s52                               // 000000010344: D1ED0075 00D20905
	v_cmp_u_f32_e64 s[46:47], v148, v148                       // 00000001034C: D048002E 00032994
	v_add3_u32 v16, v148, v19, 1                               // 000000010354: D1FF0010 02062794
	v_cndmask_b32_e64 v4, v16, v18, s[46:47]                   // 00000001035C: D1000004 00BA2510
	v_cmp_u_f32_e64 s[46:47], v149, v149                       // 000000010364: D048002E 00032B95
	v_add3_u32 v16, v149, v19, 1                               // 00000001036C: D1FF0010 02062795
	v_cndmask_b32_e64 v5, v16, v18, s[46:47]                   // 000000010374: D1000005 00BA2510
	v_perm_b32 v118, v5, v4, s52                               // 00000001037C: D1ED0076 00D20905
	v_cmp_u_f32_e64 s[46:47], v150, v150                       // 000000010384: D048002E 00032D96
	v_add3_u32 v16, v150, v19, 1                               // 00000001038C: D1FF0010 02062796
	v_cndmask_b32_e64 v4, v16, v18, s[46:47]                   // 000000010394: D1000004 00BA2510
	v_cmp_u_f32_e64 s[46:47], v151, v151                       // 00000001039C: D048002E 00032F97
	v_add3_u32 v16, v151, v19, 1                               // 0000000103A4: D1FF0010 02062797
	v_cndmask_b32_e64 v5, v16, v18, s[46:47]                   // 0000000103AC: D1000005 00BA2510
	v_perm_b32 v119, v5, v4, s52                               // 0000000103B4: D1ED0077 00D20905
	v_cmp_u_f32_e64 s[46:47], v152, v152                       // 0000000103BC: D048002E 00033198
	v_add3_u32 v16, v152, v19, 1                               // 0000000103C4: D1FF0010 02062798
	v_cndmask_b32_e64 v4, v16, v18, s[46:47]                   // 0000000103CC: D1000004 00BA2510
	v_cmp_u_f32_e64 s[46:47], v153, v153                       // 0000000103D4: D048002E 00033399
	v_add3_u32 v16, v153, v19, 1                               // 0000000103DC: D1FF0010 02062799
	v_cndmask_b32_e64 v5, v16, v18, s[46:47]                   // 0000000103E4: D1000005 00BA2510
	v_perm_b32 v120, v5, v4, s52                               // 0000000103EC: D1ED0078 00D20905
	v_cmp_u_f32_e64 s[46:47], v154, v154                       // 0000000103F4: D048002E 0003359A
	v_add3_u32 v16, v154, v19, 1                               // 0000000103FC: D1FF0010 0206279A
	v_cndmask_b32_e64 v4, v16, v18, s[46:47]                   // 000000010404: D1000004 00BA2510
	v_cmp_u_f32_e64 s[46:47], v155, v155                       // 00000001040C: D048002E 0003379B
	v_add3_u32 v16, v155, v19, 1                               // 000000010414: D1FF0010 0206279B
	v_cndmask_b32_e64 v5, v16, v18, s[46:47]                   // 00000001041C: D1000005 00BA2510
	v_perm_b32 v121, v5, v4, s52                               // 000000010424: D1ED0079 00D20905
	v_cmp_u_f32_e64 s[46:47], v156, v156                       // 00000001042C: D048002E 0003399C
	v_add3_u32 v16, v156, v19, 1                               // 000000010434: D1FF0010 0206279C
	v_cndmask_b32_e64 v4, v16, v18, s[46:47]                   // 00000001043C: D1000004 00BA2510
	v_cmp_u_f32_e64 s[46:47], v157, v157                       // 000000010444: D048002E 00033B9D
	v_add3_u32 v16, v157, v19, 1                               // 00000001044C: D1FF0010 0206279D
	v_cndmask_b32_e64 v5, v16, v18, s[46:47]                   // 000000010454: D1000005 00BA2510
	v_perm_b32 v122, v5, v4, s52                               // 00000001045C: D1ED007A 00D20905
	v_cmp_u_f32_e64 s[46:47], v158, v158                       // 000000010464: D048002E 00033D9E
	v_add3_u32 v16, v158, v19, 1                               // 00000001046C: D1FF0010 0206279E
	v_cndmask_b32_e64 v4, v16, v18, s[46:47]                   // 000000010474: D1000004 00BA2510
	v_cmp_u_f32_e64 s[46:47], v159, v159                       // 00000001047C: D048002E 00033F9F
	v_add3_u32 v16, v159, v19, 1                               // 000000010484: D1FF0010 0206279F
	v_cndmask_b32_e64 v5, v16, v18, s[46:47]                   // 00000001048C: D1000005 00BA2510
	v_perm_b32 v123, v5, v4, s52                               // 000000010494: D1ED007B 00D20905
	ds_write_b64 v20, v[88:89]                                 // 00000001049C: D89A0000 00005814
	ds_write_b64 v20, v[90:91] offset:4352                     // 0000000104A4: D89A1100 00005A14
	ds_write_b64 v20, v[92:93] offset:8704                     // 0000000104AC: D89A2200 00005C14
	ds_write_b64 v20, v[94:95] offset:13056                    // 0000000104B4: D89A3300 00005E14
	ds_write_b64 v20, v[96:97] offset:17408                    // 0000000104BC: D89A4400 00006014
	ds_write_b64 v20, v[98:99] offset:21760                    // 0000000104C4: D89A5500 00006214
	ds_write_b64 v20, v[100:101] offset:26112                  // 0000000104CC: D89A6600 00006414
	ds_write_b64 v20, v[102:103] offset:30464                  // 0000000104D4: D89A7700 00006614
	ds_write_b64 v20, v[104:105] offset:34816                  // 0000000104DC: D89A8800 00006814
	ds_write_b64 v20, v[106:107] offset:2176                   // 0000000104E4: D89A0880 00006A14
	ds_write_b64 v20, v[108:109] offset:6528                   // 0000000104EC: D89A1980 00006C14
	ds_write_b64 v20, v[110:111] offset:10880                  // 0000000104F4: D89A2A80 00006E14
	ds_write_b64 v20, v[112:113] offset:15232                  // 0000000104FC: D89A3B80 00007014
	ds_write_b64 v20, v[114:115] offset:19584                  // 000000010504: D89A4C80 00007214
	ds_write_b64 v20, v[116:117] offset:23936                  // 00000001050C: D89A5D80 00007414
	ds_write_b64 v20, v[118:119] offset:28288                  // 000000010514: D89A6E80 00007614
	ds_write_b64 v20, v[120:121] offset:32640                  // 00000001051C: D89A7F80 00007814
	ds_write_b64 v20, v[122:123] offset:36992                  // 000000010524: D89A9080 00007A14
	v_lshrrev_b32_e32 v4, 5, v0                                // 00000001052C: 20080085
	v_xor_b32_e32 v5, 1, v4                                    // 000000010530: 2A0A0881
	s_mul_i32 s60, s65, 2                                      // 000000010534: 923C8241
	s_cmp_eq_u32 s88, 0                                        // 000000010538: BF068058
	s_cselect_b32 s61, 1, 4                                    // 00000001053C: 853D8481
	s_mul_i32 s60, s61, s60                                    // 000000010540: 923C3C3D
	v_readlane_b32 s82, v3, 0                                  // 000000010544: D2890052 00010103
	s_lshr_b32 s61, s82, 24                                    // 00000001054C: 8F3D9852
	s_and_b32 s82, s82, 0xffffff                               // 000000010550: 8652FF52 00FFFFFF
	s_mul_i32 s82, s82, s71                                    // 000000010558: 92524752
	s_mul_i32 s61, s60, s61                                    // 00000001055C: 923D3D3C
	s_add_u32 s82, s82, s61                                    // 000000010560: 80523D52
	v_mul_lo_u32 v6, v5, s82                                   // 000000010564: D2850006 0000A505
	v_readlane_b32 s82, v3, 1                                  // 00000001056C: D2890052 00010303
	s_lshr_b32 s61, s82, 24                                    // 000000010574: 8F3D9852
	s_and_b32 s82, s82, 0xffffff                               // 000000010578: 8652FF52 00FFFFFF
	s_mul_i32 s82, s82, s71                                    // 000000010580: 92524752
	s_mul_i32 s61, s60, s61                                    // 000000010584: 923D3D3C
	s_add_u32 s82, s82, s61                                    // 000000010588: 80523D52
	v_mul_lo_u32 v7, v4, s82                                   // 00000001058C: D2850007 0000A504
	v_add_u32_e32 v66, v6, v7                                  // 000000010594: 68840F06
	v_readlane_b32 s82, v3, 2                                  // 000000010598: D2890052 00010503
	s_lshr_b32 s61, s82, 24                                    // 0000000105A0: 8F3D9852
	s_and_b32 s82, s82, 0xffffff                               // 0000000105A4: 8652FF52 00FFFFFF
	s_mul_i32 s82, s82, s71                                    // 0000000105AC: 92524752
	s_mul_i32 s61, s60, s61                                    // 0000000105B0: 923D3D3C
	s_add_u32 s82, s82, s61                                    // 0000000105B4: 80523D52
	v_mul_lo_u32 v6, v5, s82                                   // 0000000105B8: D2850006 0000A505
	v_readlane_b32 s82, v3, 3                                  // 0000000105C0: D2890052 00010703
	s_lshr_b32 s61, s82, 24                                    // 0000000105C8: 8F3D9852
	s_and_b32 s82, s82, 0xffffff                               // 0000000105CC: 8652FF52 00FFFFFF
	s_mul_i32 s82, s82, s71                                    // 0000000105D4: 92524752
	s_mul_i32 s61, s60, s61                                    // 0000000105D8: 923D3D3C
	s_add_u32 s82, s82, s61                                    // 0000000105DC: 80523D52
	v_mul_lo_u32 v7, v4, s82                                   // 0000000105E0: D2850007 0000A504
	v_add_u32_e32 v67, v6, v7                                  // 0000000105E8: 68860F06
	v_readlane_b32 s82, v3, 4                                  // 0000000105EC: D2890052 00010903
	s_lshr_b32 s61, s82, 24                                    // 0000000105F4: 8F3D9852
	s_and_b32 s82, s82, 0xffffff                               // 0000000105F8: 8652FF52 00FFFFFF
	s_mul_i32 s82, s82, s71                                    // 000000010600: 92524752
	s_mul_i32 s61, s60, s61                                    // 000000010604: 923D3D3C
	s_add_u32 s82, s82, s61                                    // 000000010608: 80523D52
	v_mul_lo_u32 v6, v5, s82                                   // 00000001060C: D2850006 0000A505
	v_readlane_b32 s82, v3, 5                                  // 000000010614: D2890052 00010B03
	s_lshr_b32 s61, s82, 24                                    // 00000001061C: 8F3D9852
	s_and_b32 s82, s82, 0xffffff                               // 000000010620: 8652FF52 00FFFFFF
	s_mul_i32 s82, s82, s71                                    // 000000010628: 92524752
	s_mul_i32 s61, s60, s61                                    // 00000001062C: 923D3D3C
	s_add_u32 s82, s82, s61                                    // 000000010630: 80523D52
	v_mul_lo_u32 v7, v4, s82                                   // 000000010634: D2850007 0000A504
	v_add_u32_e32 v68, v6, v7                                  // 00000001063C: 68880F06
	v_readlane_b32 s82, v3, 6                                  // 000000010640: D2890052 00010D03
	s_lshr_b32 s61, s82, 24                                    // 000000010648: 8F3D9852
	s_and_b32 s82, s82, 0xffffff                               // 00000001064C: 8652FF52 00FFFFFF
	s_mul_i32 s82, s82, s71                                    // 000000010654: 92524752
	s_mul_i32 s61, s60, s61                                    // 000000010658: 923D3D3C
	s_add_u32 s82, s82, s61                                    // 00000001065C: 80523D52
	v_mul_lo_u32 v6, v5, s82                                   // 000000010660: D2850006 0000A505
	v_readlane_b32 s82, v3, 7                                  // 000000010668: D2890052 00010F03
	s_lshr_b32 s61, s82, 24                                    // 000000010670: 8F3D9852
	s_and_b32 s82, s82, 0xffffff                               // 000000010674: 8652FF52 00FFFFFF
	s_mul_i32 s82, s82, s71                                    // 00000001067C: 92524752
	s_mul_i32 s61, s60, s61                                    // 000000010680: 923D3D3C
	s_add_u32 s82, s82, s61                                    // 000000010684: 80523D52
	v_mul_lo_u32 v7, v4, s82                                   // 000000010688: D2850007 0000A504
	v_add_u32_e32 v69, v6, v7                                  // 000000010690: 688A0F06
	v_readlane_b32 s82, v3, 8                                  // 000000010694: D2890052 00011103
	s_lshr_b32 s61, s82, 24                                    // 00000001069C: 8F3D9852
	s_and_b32 s82, s82, 0xffffff                               // 0000000106A0: 8652FF52 00FFFFFF
	s_mul_i32 s82, s82, s71                                    // 0000000106A8: 92524752
	s_mul_i32 s61, s60, s61                                    // 0000000106AC: 923D3D3C
	s_add_u32 s82, s82, s61                                    // 0000000106B0: 80523D52
	v_mul_lo_u32 v6, v5, s82                                   // 0000000106B4: D2850006 0000A505
	v_readlane_b32 s82, v3, 9                                  // 0000000106BC: D2890052 00011303
	s_lshr_b32 s61, s82, 24                                    // 0000000106C4: 8F3D9852
	s_and_b32 s82, s82, 0xffffff                               // 0000000106C8: 8652FF52 00FFFFFF
	s_mul_i32 s82, s82, s71                                    // 0000000106D0: 92524752
	s_mul_i32 s61, s60, s61                                    // 0000000106D4: 923D3D3C
	s_add_u32 s82, s82, s61                                    // 0000000106D8: 80523D52
	v_mul_lo_u32 v7, v4, s82                                   // 0000000106DC: D2850007 0000A504
	v_add_u32_e32 v70, v6, v7                                  // 0000000106E4: 688C0F06
	v_readlane_b32 s82, v3, 10                                 // 0000000106E8: D2890052 00011503
	s_lshr_b32 s61, s82, 24                                    // 0000000106F0: 8F3D9852
	s_and_b32 s82, s82, 0xffffff                               // 0000000106F4: 8652FF52 00FFFFFF
	s_mul_i32 s82, s82, s71                                    // 0000000106FC: 92524752
	s_mul_i32 s61, s60, s61                                    // 000000010700: 923D3D3C
	s_add_u32 s82, s82, s61                                    // 000000010704: 80523D52
	v_mul_lo_u32 v6, v5, s82                                   // 000000010708: D2850006 0000A505
	v_readlane_b32 s82, v3, 11                                 // 000000010710: D2890052 00011703
	s_lshr_b32 s61, s82, 24                                    // 000000010718: 8F3D9852
	s_and_b32 s82, s82, 0xffffff                               // 00000001071C: 8652FF52 00FFFFFF
	s_mul_i32 s82, s82, s71                                    // 000000010724: 92524752
	s_mul_i32 s61, s60, s61                                    // 000000010728: 923D3D3C
	s_add_u32 s82, s82, s61                                    // 00000001072C: 80523D52
	v_mul_lo_u32 v7, v4, s82                                   // 000000010730: D2850007 0000A504
	v_add_u32_e32 v71, v6, v7                                  // 000000010738: 688E0F06
	v_readlane_b32 s82, v3, 12                                 // 00000001073C: D2890052 00011903
	s_lshr_b32 s61, s82, 24                                    // 000000010744: 8F3D9852
	s_and_b32 s82, s82, 0xffffff                               // 000000010748: 8652FF52 00FFFFFF
	s_mul_i32 s82, s82, s71                                    // 000000010750: 92524752
	s_mul_i32 s61, s60, s61                                    // 000000010754: 923D3D3C
	s_add_u32 s82, s82, s61                                    // 000000010758: 80523D52
	v_mul_lo_u32 v6, v5, s82                                   // 00000001075C: D2850006 0000A505
	v_readlane_b32 s82, v3, 13                                 // 000000010764: D2890052 00011B03
	s_lshr_b32 s61, s82, 24                                    // 00000001076C: 8F3D9852
	s_and_b32 s82, s82, 0xffffff                               // 000000010770: 8652FF52 00FFFFFF
	s_mul_i32 s82, s82, s71                                    // 000000010778: 92524752
	s_mul_i32 s61, s60, s61                                    // 00000001077C: 923D3D3C
	s_add_u32 s82, s82, s61                                    // 000000010780: 80523D52
	v_mul_lo_u32 v7, v4, s82                                   // 000000010784: D2850007 0000A504
	v_add_u32_e32 v72, v6, v7                                  // 00000001078C: 68900F06
	v_readlane_b32 s82, v3, 14                                 // 000000010790: D2890052 00011D03
	s_lshr_b32 s61, s82, 24                                    // 000000010798: 8F3D9852
	s_and_b32 s82, s82, 0xffffff                               // 00000001079C: 8652FF52 00FFFFFF
	s_mul_i32 s82, s82, s71                                    // 0000000107A4: 92524752
	s_mul_i32 s61, s60, s61                                    // 0000000107A8: 923D3D3C
	s_add_u32 s82, s82, s61                                    // 0000000107AC: 80523D52
	v_mul_lo_u32 v6, v5, s82                                   // 0000000107B0: D2850006 0000A505
	v_readlane_b32 s82, v3, 15                                 // 0000000107B8: D2890052 00011F03
	s_lshr_b32 s61, s82, 24                                    // 0000000107C0: 8F3D9852
	s_and_b32 s82, s82, 0xffffff                               // 0000000107C4: 8652FF52 00FFFFFF
	s_mul_i32 s82, s82, s71                                    // 0000000107CC: 92524752
	s_mul_i32 s61, s60, s61                                    // 0000000107D0: 923D3D3C
	s_add_u32 s82, s82, s61                                    // 0000000107D4: 80523D52
	v_mul_lo_u32 v7, v4, s82                                   // 0000000107D8: D2850007 0000A504
	v_add_u32_e32 v73, v6, v7                                  // 0000000107E0: 68920F06
	v_readlane_b32 s82, v3, 16                                 // 0000000107E4: D2890052 00012103
	s_lshr_b32 s61, s82, 24                                    // 0000000107EC: 8F3D9852
	s_and_b32 s82, s82, 0xffffff                               // 0000000107F0: 8652FF52 00FFFFFF
	s_mul_i32 s82, s82, s71                                    // 0000000107F8: 92524752
	s_mul_i32 s61, s60, s61                                    // 0000000107FC: 923D3D3C
	s_add_u32 s82, s82, s61                                    // 000000010800: 80523D52
	v_mul_lo_u32 v6, v5, s82                                   // 000000010804: D2850006 0000A505
	v_readlane_b32 s82, v3, 17                                 // 00000001080C: D2890052 00012303
	s_lshr_b32 s61, s82, 24                                    // 000000010814: 8F3D9852
	s_and_b32 s82, s82, 0xffffff                               // 000000010818: 8652FF52 00FFFFFF
	s_mul_i32 s82, s82, s71                                    // 000000010820: 92524752
	s_mul_i32 s61, s60, s61                                    // 000000010824: 923D3D3C
	s_add_u32 s82, s82, s61                                    // 000000010828: 80523D52
	v_mul_lo_u32 v7, v4, s82                                   // 00000001082C: D2850007 0000A504
	v_add_u32_e32 v74, v6, v7                                  // 000000010834: 68940F06
	v_readlane_b32 s82, v3, 18                                 // 000000010838: D2890052 00012503
	s_lshr_b32 s61, s82, 24                                    // 000000010840: 8F3D9852
	s_and_b32 s82, s82, 0xffffff                               // 000000010844: 8652FF52 00FFFFFF
	s_mul_i32 s82, s82, s71                                    // 00000001084C: 92524752
	s_mul_i32 s61, s60, s61                                    // 000000010850: 923D3D3C
	s_add_u32 s82, s82, s61                                    // 000000010854: 80523D52
	v_mul_lo_u32 v6, v5, s82                                   // 000000010858: D2850006 0000A505
	v_readlane_b32 s82, v3, 19                                 // 000000010860: D2890052 00012703
	s_lshr_b32 s61, s82, 24                                    // 000000010868: 8F3D9852
	s_and_b32 s82, s82, 0xffffff                               // 00000001086C: 8652FF52 00FFFFFF
	s_mul_i32 s82, s82, s71                                    // 000000010874: 92524752
	s_mul_i32 s61, s60, s61                                    // 000000010878: 923D3D3C
	s_add_u32 s82, s82, s61                                    // 00000001087C: 80523D52
	v_mul_lo_u32 v7, v4, s82                                   // 000000010880: D2850007 0000A504
	v_add_u32_e32 v75, v6, v7                                  // 000000010888: 68960F06
	v_readlane_b32 s82, v3, 20                                 // 00000001088C: D2890052 00012903
	s_lshr_b32 s61, s82, 24                                    // 000000010894: 8F3D9852
	s_and_b32 s82, s82, 0xffffff                               // 000000010898: 8652FF52 00FFFFFF
	s_mul_i32 s82, s82, s71                                    // 0000000108A0: 92524752
	s_mul_i32 s61, s60, s61                                    // 0000000108A4: 923D3D3C
	s_add_u32 s82, s82, s61                                    // 0000000108A8: 80523D52
	v_mul_lo_u32 v6, v5, s82                                   // 0000000108AC: D2850006 0000A505
	v_readlane_b32 s82, v3, 21                                 // 0000000108B4: D2890052 00012B03
	s_lshr_b32 s61, s82, 24                                    // 0000000108BC: 8F3D9852
	s_and_b32 s82, s82, 0xffffff                               // 0000000108C0: 8652FF52 00FFFFFF
	s_mul_i32 s82, s82, s71                                    // 0000000108C8: 92524752
	s_mul_i32 s61, s60, s61                                    // 0000000108CC: 923D3D3C
	s_add_u32 s82, s82, s61                                    // 0000000108D0: 80523D52
	v_mul_lo_u32 v7, v4, s82                                   // 0000000108D4: D2850007 0000A504
	v_add_u32_e32 v76, v6, v7                                  // 0000000108DC: 68980F06
	v_readlane_b32 s82, v3, 22                                 // 0000000108E0: D2890052 00012D03
	s_lshr_b32 s61, s82, 24                                    // 0000000108E8: 8F3D9852
	s_and_b32 s82, s82, 0xffffff                               // 0000000108EC: 8652FF52 00FFFFFF
	s_mul_i32 s82, s82, s71                                    // 0000000108F4: 92524752
	s_mul_i32 s61, s60, s61                                    // 0000000108F8: 923D3D3C
	s_add_u32 s82, s82, s61                                    // 0000000108FC: 80523D52
	v_mul_lo_u32 v6, v5, s82                                   // 000000010900: D2850006 0000A505
	v_readlane_b32 s82, v3, 23                                 // 000000010908: D2890052 00012F03
	s_lshr_b32 s61, s82, 24                                    // 000000010910: 8F3D9852
	s_and_b32 s82, s82, 0xffffff                               // 000000010914: 8652FF52 00FFFFFF
	s_mul_i32 s82, s82, s71                                    // 00000001091C: 92524752
	s_mul_i32 s61, s60, s61                                    // 000000010920: 923D3D3C
	s_add_u32 s82, s82, s61                                    // 000000010924: 80523D52
	v_mul_lo_u32 v7, v4, s82                                   // 000000010928: D2850007 0000A504
	v_add_u32_e32 v77, v6, v7                                  // 000000010930: 689A0F06
	v_readlane_b32 s82, v3, 24                                 // 000000010934: D2890052 00013103
	s_lshr_b32 s61, s82, 24                                    // 00000001093C: 8F3D9852
	s_and_b32 s82, s82, 0xffffff                               // 000000010940: 8652FF52 00FFFFFF
	s_mul_i32 s82, s82, s71                                    // 000000010948: 92524752
	s_mul_i32 s61, s60, s61                                    // 00000001094C: 923D3D3C
	s_add_u32 s82, s82, s61                                    // 000000010950: 80523D52
	v_mul_lo_u32 v6, v5, s82                                   // 000000010954: D2850006 0000A505
	v_readlane_b32 s82, v3, 25                                 // 00000001095C: D2890052 00013303
	s_lshr_b32 s61, s82, 24                                    // 000000010964: 8F3D9852
	s_and_b32 s82, s82, 0xffffff                               // 000000010968: 8652FF52 00FFFFFF
	s_mul_i32 s82, s82, s71                                    // 000000010970: 92524752
	s_mul_i32 s61, s60, s61                                    // 000000010974: 923D3D3C
	s_add_u32 s82, s82, s61                                    // 000000010978: 80523D52
	v_mul_lo_u32 v7, v4, s82                                   // 00000001097C: D2850007 0000A504
	v_add_u32_e32 v78, v6, v7                                  // 000000010984: 689C0F06
	v_readlane_b32 s82, v3, 26                                 // 000000010988: D2890052 00013503
	s_lshr_b32 s61, s82, 24                                    // 000000010990: 8F3D9852
	s_and_b32 s82, s82, 0xffffff                               // 000000010994: 8652FF52 00FFFFFF
	s_mul_i32 s82, s82, s71                                    // 00000001099C: 92524752
	s_mul_i32 s61, s60, s61                                    // 0000000109A0: 923D3D3C
	s_add_u32 s82, s82, s61                                    // 0000000109A4: 80523D52
	v_mul_lo_u32 v6, v5, s82                                   // 0000000109A8: D2850006 0000A505
	v_readlane_b32 s82, v3, 27                                 // 0000000109B0: D2890052 00013703
	s_lshr_b32 s61, s82, 24                                    // 0000000109B8: 8F3D9852
	s_and_b32 s82, s82, 0xffffff                               // 0000000109BC: 8652FF52 00FFFFFF
	s_mul_i32 s82, s82, s71                                    // 0000000109C4: 92524752
	s_mul_i32 s61, s60, s61                                    // 0000000109C8: 923D3D3C
	s_add_u32 s82, s82, s61                                    // 0000000109CC: 80523D52
	v_mul_lo_u32 v7, v4, s82                                   // 0000000109D0: D2850007 0000A504
	v_add_u32_e32 v79, v6, v7                                  // 0000000109D8: 689E0F06
	v_readlane_b32 s82, v3, 28                                 // 0000000109DC: D2890052 00013903
	s_lshr_b32 s61, s82, 24                                    // 0000000109E4: 8F3D9852
	s_and_b32 s82, s82, 0xffffff                               // 0000000109E8: 8652FF52 00FFFFFF
	s_mul_i32 s82, s82, s71                                    // 0000000109F0: 92524752
	s_mul_i32 s61, s60, s61                                    // 0000000109F4: 923D3D3C
	s_add_u32 s82, s82, s61                                    // 0000000109F8: 80523D52
	v_mul_lo_u32 v6, v5, s82                                   // 0000000109FC: D2850006 0000A505
	v_readlane_b32 s82, v3, 29                                 // 000000010A04: D2890052 00013B03
	s_lshr_b32 s61, s82, 24                                    // 000000010A0C: 8F3D9852
	s_and_b32 s82, s82, 0xffffff                               // 000000010A10: 8652FF52 00FFFFFF
	s_mul_i32 s82, s82, s71                                    // 000000010A18: 92524752
	s_mul_i32 s61, s60, s61                                    // 000000010A1C: 923D3D3C
	s_add_u32 s82, s82, s61                                    // 000000010A20: 80523D52
	v_mul_lo_u32 v7, v4, s82                                   // 000000010A24: D2850007 0000A504
	v_add_u32_e32 v80, v6, v7                                  // 000000010A2C: 68A00F06
	v_readlane_b32 s82, v3, 30                                 // 000000010A30: D2890052 00013D03
	s_lshr_b32 s61, s82, 24                                    // 000000010A38: 8F3D9852
	s_and_b32 s82, s82, 0xffffff                               // 000000010A3C: 8652FF52 00FFFFFF
	s_mul_i32 s82, s82, s71                                    // 000000010A44: 92524752
	s_mul_i32 s61, s60, s61                                    // 000000010A48: 923D3D3C
	s_add_u32 s82, s82, s61                                    // 000000010A4C: 80523D52
	v_mul_lo_u32 v6, v5, s82                                   // 000000010A50: D2850006 0000A505
	v_readlane_b32 s82, v3, 31                                 // 000000010A58: D2890052 00013F03
	s_lshr_b32 s61, s82, 24                                    // 000000010A60: 8F3D9852
	s_and_b32 s82, s82, 0xffffff                               // 000000010A64: 8652FF52 00FFFFFF
	s_mul_i32 s82, s82, s71                                    // 000000010A6C: 92524752
	s_mul_i32 s61, s60, s61                                    // 000000010A70: 923D3D3C
	s_add_u32 s82, s82, s61                                    // 000000010A74: 80523D52
	v_mul_lo_u32 v7, v4, s82                                   // 000000010A78: D2850007 0000A504
	v_add_u32_e32 v81, v6, v7                                  // 000000010A80: 68A20F06
	v_readlane_b32 s82, v3, 32                                 // 000000010A84: D2890052 00014103
	s_lshr_b32 s61, s82, 24                                    // 000000010A8C: 8F3D9852
	s_and_b32 s82, s82, 0xffffff                               // 000000010A90: 8652FF52 00FFFFFF
	s_mul_i32 s82, s82, s71                                    // 000000010A98: 92524752
	s_mul_i32 s61, s60, s61                                    // 000000010A9C: 923D3D3C
	s_add_u32 s82, s82, s61                                    // 000000010AA0: 80523D52
	v_mul_lo_u32 v6, v5, s82                                   // 000000010AA4: D2850006 0000A505
	v_readlane_b32 s82, v3, 33                                 // 000000010AAC: D2890052 00014303
	s_lshr_b32 s61, s82, 24                                    // 000000010AB4: 8F3D9852
	s_and_b32 s82, s82, 0xffffff                               // 000000010AB8: 8652FF52 00FFFFFF
	s_mul_i32 s82, s82, s71                                    // 000000010AC0: 92524752
	s_mul_i32 s61, s60, s61                                    // 000000010AC4: 923D3D3C
	s_add_u32 s82, s82, s61                                    // 000000010AC8: 80523D52
	v_mul_lo_u32 v7, v4, s82                                   // 000000010ACC: D2850007 0000A504
	v_add_u32_e32 v82, v6, v7                                  // 000000010AD4: 68A40F06
	v_readlane_b32 s82, v3, 34                                 // 000000010AD8: D2890052 00014503
	s_lshr_b32 s61, s82, 24                                    // 000000010AE0: 8F3D9852
	s_and_b32 s82, s82, 0xffffff                               // 000000010AE4: 8652FF52 00FFFFFF
	s_mul_i32 s82, s82, s71                                    // 000000010AEC: 92524752
	s_mul_i32 s61, s60, s61                                    // 000000010AF0: 923D3D3C
	s_add_u32 s82, s82, s61                                    // 000000010AF4: 80523D52
	v_mul_lo_u32 v6, v5, s82                                   // 000000010AF8: D2850006 0000A505
	v_readlane_b32 s82, v3, 35                                 // 000000010B00: D2890052 00014703
	s_lshr_b32 s61, s82, 24                                    // 000000010B08: 8F3D9852
	s_and_b32 s82, s82, 0xffffff                               // 000000010B0C: 8652FF52 00FFFFFF
	s_mul_i32 s82, s82, s71                                    // 000000010B14: 92524752
	s_mul_i32 s61, s60, s61                                    // 000000010B18: 923D3D3C
	s_add_u32 s82, s82, s61                                    // 000000010B1C: 80523D52
	v_mul_lo_u32 v7, v4, s82                                   // 000000010B20: D2850007 0000A504
	v_add_u32_e32 v83, v6, v7                                  // 000000010B28: 68A60F06
	v_and_b32_e32 v4, 31, v0                                   // 000000010B2C: 2608009F
	v_lshrrev_b32_e32 v4, 1, v4                                // 000000010B30: 20080881
	s_cmp_eq_u32 s88, 0                                        // 000000010B34: BF068058
	s_cselect_b32 s61, 2, 4                                    // 000000010B38: 853D8482
	v_mul_lo_u32 v4, v4, s61                                   // 000000010B3C: D2850004 00007B04
	v_and_b32_e64 v5, v0, 1                                    // 000000010B44: D1130005 00010300
	v_add_u32_e32 v4, v4, v5                                   // 000000010B4C: 68080B04
	v_lshlrev_b32_e32 v4, 2, v4                                // 000000010B50: 24080882
	v_add_u32_e32 v66, v66, v4                                 // 000000010B54: 68840942
	v_add_u32_e32 v67, v67, v4                                 // 000000010B58: 68860943
	v_add_u32_e32 v68, v68, v4                                 // 000000010B5C: 68880944
	v_add_u32_e32 v69, v69, v4                                 // 000000010B60: 688A0945
	v_add_u32_e32 v70, v70, v4                                 // 000000010B64: 688C0946
	v_add_u32_e32 v71, v71, v4                                 // 000000010B68: 688E0947
	v_add_u32_e32 v72, v72, v4                                 // 000000010B6C: 68900948
	v_add_u32_e32 v73, v73, v4                                 // 000000010B70: 68920949
	v_add_u32_e32 v74, v74, v4                                 // 000000010B74: 6894094A
	v_add_u32_e32 v75, v75, v4                                 // 000000010B78: 6896094B
	v_add_u32_e32 v76, v76, v4                                 // 000000010B7C: 6898094C
	v_add_u32_e32 v77, v77, v4                                 // 000000010B80: 689A094D
	v_add_u32_e32 v78, v78, v4                                 // 000000010B84: 689C094E
	v_add_u32_e32 v79, v79, v4                                 // 000000010B88: 689E094F
	v_add_u32_e32 v80, v80, v4                                 // 000000010B8C: 68A00950
	v_add_u32_e32 v81, v81, v4                                 // 000000010B90: 68A20951
	v_add_u32_e32 v82, v82, v4                                 // 000000010B94: 68A40952
	v_add_u32_e32 v83, v83, v4                                 // 000000010B98: 68A60953
	s_waitcnt lgkmcnt(0)                                       // 000000010B9C: BF8CC07F
	s_barrier                                                  // 000000010BA0: BF8A0000
	ds_read_b32 v88, v21                                       // 000000010BA4: D86C0000 58000015
	ds_read_b32 v89, v21 offset:64                             // 000000010BAC: D86C0040 59000015
	ds_read_b32 v90, v21 offset:2176                           // 000000010BB4: D86C0880 5A000015
	ds_read_b32 v91, v21 offset:2240                           // 000000010BBC: D86C08C0 5B000015
	ds_read_b32 v92, v21 offset:4352                           // 000000010BC4: D86C1100 5C000015
	ds_read_b32 v93, v21 offset:4416                           // 000000010BCC: D86C1140 5D000015
	ds_read_b32 v94, v21 offset:6528                           // 000000010BD4: D86C1980 5E000015
	ds_read_b32 v95, v21 offset:6592                           // 000000010BDC: D86C19C0 5F000015
	ds_read_b32 v96, v21 offset:8704                           // 000000010BE4: D86C2200 60000015
	ds_read_b32 v97, v21 offset:8768                           // 000000010BEC: D86C2240 61000015
	ds_read_b32 v98, v21 offset:10880                          // 000000010BF4: D86C2A80 62000015
	ds_read_b32 v99, v21 offset:10944                          // 000000010BFC: D86C2AC0 63000015
	ds_read_b32 v100, v21 offset:13056                         // 000000010C04: D86C3300 64000015
	ds_read_b32 v101, v21 offset:13120                         // 000000010C0C: D86C3340 65000015
	ds_read_b32 v102, v21 offset:15232                         // 000000010C14: D86C3B80 66000015
	ds_read_b32 v103, v21 offset:15296                         // 000000010C1C: D86C3BC0 67000015
	ds_read_b32 v104, v21 offset:17408                         // 000000010C24: D86C4400 68000015
	ds_read_b32 v105, v21 offset:17472                         // 000000010C2C: D86C4440 69000015
	ds_read_b32 v106, v21 offset:19584                         // 000000010C34: D86C4C80 6A000015
	ds_read_b32 v107, v21 offset:19648                         // 000000010C3C: D86C4CC0 6B000015
	ds_read_b32 v108, v21 offset:21760                         // 000000010C44: D86C5500 6C000015
	ds_read_b32 v109, v21 offset:21824                         // 000000010C4C: D86C5540 6D000015
	ds_read_b32 v110, v21 offset:23936                         // 000000010C54: D86C5D80 6E000015
	ds_read_b32 v111, v21 offset:24000                         // 000000010C5C: D86C5DC0 6F000015
	ds_read_b32 v112, v21 offset:26112                         // 000000010C64: D86C6600 70000015
	ds_read_b32 v113, v21 offset:26176                         // 000000010C6C: D86C6640 71000015
	ds_read_b32 v114, v21 offset:28288                         // 000000010C74: D86C6E80 72000015
	ds_read_b32 v115, v21 offset:28352                         // 000000010C7C: D86C6EC0 73000015
	ds_read_b32 v116, v21 offset:30464                         // 000000010C84: D86C7700 74000015
	ds_read_b32 v117, v21 offset:30528                         // 000000010C8C: D86C7740 75000015
	ds_read_b32 v118, v21 offset:32640                         // 000000010C94: D86C7F80 76000015
	ds_read_b32 v119, v21 offset:32704                         // 000000010C9C: D86C7FC0 77000015
	ds_read_b32 v120, v21 offset:34816                         // 000000010CA4: D86C8800 78000015
	ds_read_b32 v121, v21 offset:34880                         // 000000010CAC: D86C8840 79000015
	ds_read_b32 v122, v21 offset:36992                         // 000000010CB4: D86C9080 7A000015
	ds_read_b32 v123, v21 offset:37056                         // 000000010CBC: D86C90C0 7B000015
	s_waitcnt lgkmcnt(0)                                       // 000000010CC4: BF8CC07F
	s_mov_b32 s36, -1                                          // 000000010CC8: BEA400C1
	s_mov_b32 s37, -1                                          // 000000010CCC: BEA500C1
	v_mov_b32_e32 v7, 0                                        // 000000010CD0: 7E0E0280
	s_or_b32 s9, s9, 0x40000                                   // 000000010CD4: 8709FF09 00040000
	s_mov_b64 exec, s[36:37]                                   // 000000010CDC: BEFE0124
	v_mov_b32_e32 v6, v66                                      // 000000010CE0: 7E0C0342
	s_mov_b64 s[60:61], 0                                      // 000000010CE4: BEBC0180
	v_readlane_b32 s82, v3, 0                                  // 000000010CE8: D2890052 00010103
	s_and_b32 s82, s82, 0xffffff                               // 000000010CF0: 8652FF52 00FFFFFF
	s_cmp_lt_u32 s82, s66                                      // 000000010CF8: BF0A4252
	s_cselect_b32 s20, s36, s60                                // 000000010CFC: 85143C24
	v_readlane_b32 s82, v3, 1                                  // 000000010D00: D2890052 00010303
	s_and_b32 s82, s82, 0xffffff                               // 000000010D08: 8652FF52 00FFFFFF
	s_cmp_lt_u32 s82, s66                                      // 000000010D10: BF0A4252
	s_cselect_b32 s21, s36, s60                                // 000000010D14: 85153C24
	s_mov_b64 exec, s[20:21]                                   // 000000010D18: BEFE0114
	buffer_store_dword v88, v6, s[8:11], 0 offen               // 000000010D1C: E0701000 80025806
	buffer_store_dword v90, v6, s[8:11], 0 offen offset:128    // 000000010D24: E0701080 80025A06
	s_mov_b64 exec, s[36:37]                                   // 000000010D2C: BEFE0124
	v_mov_b32_e32 v6, v67                                      // 000000010D30: 7E0C0343
	s_mov_b64 s[60:61], 0                                      // 000000010D34: BEBC0180
	v_readlane_b32 s82, v3, 2                                  // 000000010D38: D2890052 00010503
	s_and_b32 s82, s82, 0xffffff                               // 000000010D40: 8652FF52 00FFFFFF
	s_cmp_lt_u32 s82, s66                                      // 000000010D48: BF0A4252
	s_cselect_b32 s20, s36, s60                                // 000000010D4C: 85143C24
	v_readlane_b32 s82, v3, 3                                  // 000000010D50: D2890052 00010703
	s_and_b32 s82, s82, 0xffffff                               // 000000010D58: 8652FF52 00FFFFFF
	s_cmp_lt_u32 s82, s66                                      // 000000010D60: BF0A4252
	s_cselect_b32 s21, s36, s60                                // 000000010D64: 85153C24
	s_mov_b64 exec, s[20:21]                                   // 000000010D68: BEFE0114
	buffer_store_dword v89, v6, s[8:11], 0 offen               // 000000010D6C: E0701000 80025906
	buffer_store_dword v91, v6, s[8:11], 0 offen offset:128    // 000000010D74: E0701080 80025B06
	s_mov_b64 exec, s[36:37]                                   // 000000010D7C: BEFE0124
	v_mov_b32_e32 v6, v68                                      // 000000010D80: 7E0C0344
	s_mov_b64 s[60:61], 0                                      // 000000010D84: BEBC0180
	v_readlane_b32 s82, v3, 4                                  // 000000010D88: D2890052 00010903
	s_and_b32 s82, s82, 0xffffff                               // 000000010D90: 8652FF52 00FFFFFF
	s_cmp_lt_u32 s82, s66                                      // 000000010D98: BF0A4252
	s_cselect_b32 s20, s36, s60                                // 000000010D9C: 85143C24
	v_readlane_b32 s82, v3, 5                                  // 000000010DA0: D2890052 00010B03
	s_and_b32 s82, s82, 0xffffff                               // 000000010DA8: 8652FF52 00FFFFFF
	s_cmp_lt_u32 s82, s66                                      // 000000010DB0: BF0A4252
	s_cselect_b32 s21, s36, s60                                // 000000010DB4: 85153C24
	s_mov_b64 exec, s[20:21]                                   // 000000010DB8: BEFE0114
	buffer_store_dword v92, v6, s[8:11], 0 offen               // 000000010DBC: E0701000 80025C06
	buffer_store_dword v94, v6, s[8:11], 0 offen offset:128    // 000000010DC4: E0701080 80025E06
	s_mov_b64 exec, s[36:37]                                   // 000000010DCC: BEFE0124
	v_mov_b32_e32 v6, v69                                      // 000000010DD0: 7E0C0345
	s_mov_b64 s[60:61], 0                                      // 000000010DD4: BEBC0180
	v_readlane_b32 s82, v3, 6                                  // 000000010DD8: D2890052 00010D03
	s_and_b32 s82, s82, 0xffffff                               // 000000010DE0: 8652FF52 00FFFFFF
	s_cmp_lt_u32 s82, s66                                      // 000000010DE8: BF0A4252
	s_cselect_b32 s20, s36, s60                                // 000000010DEC: 85143C24
	v_readlane_b32 s82, v3, 7                                  // 000000010DF0: D2890052 00010F03
	s_and_b32 s82, s82, 0xffffff                               // 000000010DF8: 8652FF52 00FFFFFF
	s_cmp_lt_u32 s82, s66                                      // 000000010E00: BF0A4252
	s_cselect_b32 s21, s36, s60                                // 000000010E04: 85153C24
	s_mov_b64 exec, s[20:21]                                   // 000000010E08: BEFE0114
	buffer_store_dword v93, v6, s[8:11], 0 offen               // 000000010E0C: E0701000 80025D06
	buffer_store_dword v95, v6, s[8:11], 0 offen offset:128    // 000000010E14: E0701080 80025F06
	s_mov_b64 exec, s[36:37]                                   // 000000010E1C: BEFE0124
	v_mov_b32_e32 v6, v70                                      // 000000010E20: 7E0C0346
	s_mov_b64 s[60:61], 0                                      // 000000010E24: BEBC0180
	v_readlane_b32 s82, v3, 8                                  // 000000010E28: D2890052 00011103
	s_and_b32 s82, s82, 0xffffff                               // 000000010E30: 8652FF52 00FFFFFF
	s_cmp_lt_u32 s82, s66                                      // 000000010E38: BF0A4252
	s_cselect_b32 s20, s36, s60                                // 000000010E3C: 85143C24
	v_readlane_b32 s82, v3, 9                                  // 000000010E40: D2890052 00011303
	s_and_b32 s82, s82, 0xffffff                               // 000000010E48: 8652FF52 00FFFFFF
	s_cmp_lt_u32 s82, s66                                      // 000000010E50: BF0A4252
	s_cselect_b32 s21, s36, s60                                // 000000010E54: 85153C24
	s_mov_b64 exec, s[20:21]                                   // 000000010E58: BEFE0114
	buffer_store_dword v96, v6, s[8:11], 0 offen               // 000000010E5C: E0701000 80026006
	buffer_store_dword v98, v6, s[8:11], 0 offen offset:128    // 000000010E64: E0701080 80026206
	s_mov_b64 exec, s[36:37]                                   // 000000010E6C: BEFE0124
	v_mov_b32_e32 v6, v71                                      // 000000010E70: 7E0C0347
	s_mov_b64 s[60:61], 0                                      // 000000010E74: BEBC0180
	v_readlane_b32 s82, v3, 10                                 // 000000010E78: D2890052 00011503
	s_and_b32 s82, s82, 0xffffff                               // 000000010E80: 8652FF52 00FFFFFF
	s_cmp_lt_u32 s82, s66                                      // 000000010E88: BF0A4252
	s_cselect_b32 s20, s36, s60                                // 000000010E8C: 85143C24
	v_readlane_b32 s82, v3, 11                                 // 000000010E90: D2890052 00011703
	s_and_b32 s82, s82, 0xffffff                               // 000000010E98: 8652FF52 00FFFFFF
	s_cmp_lt_u32 s82, s66                                      // 000000010EA0: BF0A4252
	s_cselect_b32 s21, s36, s60                                // 000000010EA4: 85153C24
	s_mov_b64 exec, s[20:21]                                   // 000000010EA8: BEFE0114
	buffer_store_dword v97, v6, s[8:11], 0 offen               // 000000010EAC: E0701000 80026106
	buffer_store_dword v99, v6, s[8:11], 0 offen offset:128    // 000000010EB4: E0701080 80026306
	s_mov_b64 exec, s[36:37]                                   // 000000010EBC: BEFE0124
	v_mov_b32_e32 v6, v72                                      // 000000010EC0: 7E0C0348
	s_mov_b64 s[60:61], 0                                      // 000000010EC4: BEBC0180
	v_readlane_b32 s82, v3, 12                                 // 000000010EC8: D2890052 00011903
	s_and_b32 s82, s82, 0xffffff                               // 000000010ED0: 8652FF52 00FFFFFF
	s_cmp_lt_u32 s82, s66                                      // 000000010ED8: BF0A4252
	s_cselect_b32 s20, s36, s60                                // 000000010EDC: 85143C24
	v_readlane_b32 s82, v3, 13                                 // 000000010EE0: D2890052 00011B03
	s_and_b32 s82, s82, 0xffffff                               // 000000010EE8: 8652FF52 00FFFFFF
	s_cmp_lt_u32 s82, s66                                      // 000000010EF0: BF0A4252
	s_cselect_b32 s21, s36, s60                                // 000000010EF4: 85153C24
	s_mov_b64 exec, s[20:21]                                   // 000000010EF8: BEFE0114
	buffer_store_dword v100, v6, s[8:11], 0 offen              // 000000010EFC: E0701000 80026406
	buffer_store_dword v102, v6, s[8:11], 0 offen offset:128   // 000000010F04: E0701080 80026606
	s_mov_b64 exec, s[36:37]                                   // 000000010F0C: BEFE0124
	v_mov_b32_e32 v6, v73                                      // 000000010F10: 7E0C0349
	s_mov_b64 s[60:61], 0                                      // 000000010F14: BEBC0180
	v_readlane_b32 s82, v3, 14                                 // 000000010F18: D2890052 00011D03
	s_and_b32 s82, s82, 0xffffff                               // 000000010F20: 8652FF52 00FFFFFF
	s_cmp_lt_u32 s82, s66                                      // 000000010F28: BF0A4252
	s_cselect_b32 s20, s36, s60                                // 000000010F2C: 85143C24
	v_readlane_b32 s82, v3, 15                                 // 000000010F30: D2890052 00011F03
	s_and_b32 s82, s82, 0xffffff                               // 000000010F38: 8652FF52 00FFFFFF
	s_cmp_lt_u32 s82, s66                                      // 000000010F40: BF0A4252
	s_cselect_b32 s21, s36, s60                                // 000000010F44: 85153C24
	s_mov_b64 exec, s[20:21]                                   // 000000010F48: BEFE0114
	buffer_store_dword v101, v6, s[8:11], 0 offen              // 000000010F4C: E0701000 80026506
	buffer_store_dword v103, v6, s[8:11], 0 offen offset:128   // 000000010F54: E0701080 80026706
	s_mov_b64 exec, s[36:37]                                   // 000000010F5C: BEFE0124
	v_mov_b32_e32 v6, v74                                      // 000000010F60: 7E0C034A
	s_mov_b64 s[60:61], 0                                      // 000000010F64: BEBC0180
	v_readlane_b32 s82, v3, 16                                 // 000000010F68: D2890052 00012103
	s_and_b32 s82, s82, 0xffffff                               // 000000010F70: 8652FF52 00FFFFFF
	s_cmp_lt_u32 s82, s66                                      // 000000010F78: BF0A4252
	s_cselect_b32 s20, s36, s60                                // 000000010F7C: 85143C24
	v_readlane_b32 s82, v3, 17                                 // 000000010F80: D2890052 00012303
	s_and_b32 s82, s82, 0xffffff                               // 000000010F88: 8652FF52 00FFFFFF
	s_cmp_lt_u32 s82, s66                                      // 000000010F90: BF0A4252
	s_cselect_b32 s21, s36, s60                                // 000000010F94: 85153C24
	s_mov_b64 exec, s[20:21]                                   // 000000010F98: BEFE0114
	buffer_store_dword v104, v6, s[8:11], 0 offen              // 000000010F9C: E0701000 80026806
	buffer_store_dword v106, v6, s[8:11], 0 offen offset:128   // 000000010FA4: E0701080 80026A06
	s_mov_b64 exec, s[36:37]                                   // 000000010FAC: BEFE0124
	v_mov_b32_e32 v6, v75                                      // 000000010FB0: 7E0C034B
	s_mov_b64 s[60:61], 0                                      // 000000010FB4: BEBC0180
	v_readlane_b32 s82, v3, 18                                 // 000000010FB8: D2890052 00012503
	s_and_b32 s82, s82, 0xffffff                               // 000000010FC0: 8652FF52 00FFFFFF
	s_cmp_lt_u32 s82, s66                                      // 000000010FC8: BF0A4252
	s_cselect_b32 s20, s36, s60                                // 000000010FCC: 85143C24
	v_readlane_b32 s82, v3, 19                                 // 000000010FD0: D2890052 00012703
	s_and_b32 s82, s82, 0xffffff                               // 000000010FD8: 8652FF52 00FFFFFF
	s_cmp_lt_u32 s82, s66                                      // 000000010FE0: BF0A4252
	s_cselect_b32 s21, s36, s60                                // 000000010FE4: 85153C24
	s_mov_b64 exec, s[20:21]                                   // 000000010FE8: BEFE0114
	buffer_store_dword v105, v6, s[8:11], 0 offen              // 000000010FEC: E0701000 80026906
	buffer_store_dword v107, v6, s[8:11], 0 offen offset:128   // 000000010FF4: E0701080 80026B06
	s_mov_b64 exec, s[36:37]                                   // 000000010FFC: BEFE0124
	v_mov_b32_e32 v6, v76                                      // 000000011000: 7E0C034C
	s_mov_b64 s[60:61], 0                                      // 000000011004: BEBC0180
	v_readlane_b32 s82, v3, 20                                 // 000000011008: D2890052 00012903
	s_and_b32 s82, s82, 0xffffff                               // 000000011010: 8652FF52 00FFFFFF
	s_cmp_lt_u32 s82, s66                                      // 000000011018: BF0A4252
	s_cselect_b32 s20, s36, s60                                // 00000001101C: 85143C24
	v_readlane_b32 s82, v3, 21                                 // 000000011020: D2890052 00012B03
	s_and_b32 s82, s82, 0xffffff                               // 000000011028: 8652FF52 00FFFFFF
	s_cmp_lt_u32 s82, s66                                      // 000000011030: BF0A4252
	s_cselect_b32 s21, s36, s60                                // 000000011034: 85153C24
	s_mov_b64 exec, s[20:21]                                   // 000000011038: BEFE0114
	buffer_store_dword v108, v6, s[8:11], 0 offen              // 00000001103C: E0701000 80026C06
	buffer_store_dword v110, v6, s[8:11], 0 offen offset:128   // 000000011044: E0701080 80026E06
	s_mov_b64 exec, s[36:37]                                   // 00000001104C: BEFE0124
	v_mov_b32_e32 v6, v77                                      // 000000011050: 7E0C034D
	s_mov_b64 s[60:61], 0                                      // 000000011054: BEBC0180
	v_readlane_b32 s82, v3, 22                                 // 000000011058: D2890052 00012D03
	s_and_b32 s82, s82, 0xffffff                               // 000000011060: 8652FF52 00FFFFFF
	s_cmp_lt_u32 s82, s66                                      // 000000011068: BF0A4252
	s_cselect_b32 s20, s36, s60                                // 00000001106C: 85143C24
	v_readlane_b32 s82, v3, 23                                 // 000000011070: D2890052 00012F03
	s_and_b32 s82, s82, 0xffffff                               // 000000011078: 8652FF52 00FFFFFF
	s_cmp_lt_u32 s82, s66                                      // 000000011080: BF0A4252
	s_cselect_b32 s21, s36, s60                                // 000000011084: 85153C24
	s_mov_b64 exec, s[20:21]                                   // 000000011088: BEFE0114
	buffer_store_dword v109, v6, s[8:11], 0 offen              // 00000001108C: E0701000 80026D06
	buffer_store_dword v111, v6, s[8:11], 0 offen offset:128   // 000000011094: E0701080 80026F06
	s_mov_b64 exec, s[36:37]                                   // 00000001109C: BEFE0124
	v_mov_b32_e32 v6, v78                                      // 0000000110A0: 7E0C034E
	s_mov_b64 s[60:61], 0                                      // 0000000110A4: BEBC0180
	v_readlane_b32 s82, v3, 24                                 // 0000000110A8: D2890052 00013103
	s_and_b32 s82, s82, 0xffffff                               // 0000000110B0: 8652FF52 00FFFFFF
	s_cmp_lt_u32 s82, s66                                      // 0000000110B8: BF0A4252
	s_cselect_b32 s20, s36, s60                                // 0000000110BC: 85143C24
	v_readlane_b32 s82, v3, 25                                 // 0000000110C0: D2890052 00013303
	s_and_b32 s82, s82, 0xffffff                               // 0000000110C8: 8652FF52 00FFFFFF
	s_cmp_lt_u32 s82, s66                                      // 0000000110D0: BF0A4252
	s_cselect_b32 s21, s36, s60                                // 0000000110D4: 85153C24
	s_mov_b64 exec, s[20:21]                                   // 0000000110D8: BEFE0114
	buffer_store_dword v112, v6, s[8:11], 0 offen              // 0000000110DC: E0701000 80027006
	buffer_store_dword v114, v6, s[8:11], 0 offen offset:128   // 0000000110E4: E0701080 80027206
	s_mov_b64 exec, s[36:37]                                   // 0000000110EC: BEFE0124
	v_mov_b32_e32 v6, v79                                      // 0000000110F0: 7E0C034F
	s_mov_b64 s[60:61], 0                                      // 0000000110F4: BEBC0180
	v_readlane_b32 s82, v3, 26                                 // 0000000110F8: D2890052 00013503
	s_and_b32 s82, s82, 0xffffff                               // 000000011100: 8652FF52 00FFFFFF
	s_cmp_lt_u32 s82, s66                                      // 000000011108: BF0A4252
	s_cselect_b32 s20, s36, s60                                // 00000001110C: 85143C24
	v_readlane_b32 s82, v3, 27                                 // 000000011110: D2890052 00013703
	s_and_b32 s82, s82, 0xffffff                               // 000000011118: 8652FF52 00FFFFFF
	s_cmp_lt_u32 s82, s66                                      // 000000011120: BF0A4252
	s_cselect_b32 s21, s36, s60                                // 000000011124: 85153C24
	s_mov_b64 exec, s[20:21]                                   // 000000011128: BEFE0114
	buffer_store_dword v113, v6, s[8:11], 0 offen              // 00000001112C: E0701000 80027106
	buffer_store_dword v115, v6, s[8:11], 0 offen offset:128   // 000000011134: E0701080 80027306
	s_mov_b64 exec, s[36:37]                                   // 00000001113C: BEFE0124
	v_mov_b32_e32 v6, v80                                      // 000000011140: 7E0C0350
	s_mov_b64 s[60:61], 0                                      // 000000011144: BEBC0180
	v_readlane_b32 s82, v3, 28                                 // 000000011148: D2890052 00013903
	s_and_b32 s82, s82, 0xffffff                               // 000000011150: 8652FF52 00FFFFFF
	s_cmp_lt_u32 s82, s66                                      // 000000011158: BF0A4252
	s_cselect_b32 s20, s36, s60                                // 00000001115C: 85143C24
	v_readlane_b32 s82, v3, 29                                 // 000000011160: D2890052 00013B03
	s_and_b32 s82, s82, 0xffffff                               // 000000011168: 8652FF52 00FFFFFF
	s_cmp_lt_u32 s82, s66                                      // 000000011170: BF0A4252
	s_cselect_b32 s21, s36, s60                                // 000000011174: 85153C24
	s_mov_b64 exec, s[20:21]                                   // 000000011178: BEFE0114
	buffer_store_dword v116, v6, s[8:11], 0 offen              // 00000001117C: E0701000 80027406
	buffer_store_dword v118, v6, s[8:11], 0 offen offset:128   // 000000011184: E0701080 80027606
	s_mov_b64 exec, s[36:37]                                   // 00000001118C: BEFE0124
	v_mov_b32_e32 v6, v81                                      // 000000011190: 7E0C0351
	s_mov_b64 s[60:61], 0                                      // 000000011194: BEBC0180
	v_readlane_b32 s82, v3, 30                                 // 000000011198: D2890052 00013D03
	s_and_b32 s82, s82, 0xffffff                               // 0000000111A0: 8652FF52 00FFFFFF
	s_cmp_lt_u32 s82, s66                                      // 0000000111A8: BF0A4252
	s_cselect_b32 s20, s36, s60                                // 0000000111AC: 85143C24
	v_readlane_b32 s82, v3, 31                                 // 0000000111B0: D2890052 00013F03
	s_and_b32 s82, s82, 0xffffff                               // 0000000111B8: 8652FF52 00FFFFFF
	s_cmp_lt_u32 s82, s66                                      // 0000000111C0: BF0A4252
	s_cselect_b32 s21, s36, s60                                // 0000000111C4: 85153C24
	s_mov_b64 exec, s[20:21]                                   // 0000000111C8: BEFE0114
	buffer_store_dword v117, v6, s[8:11], 0 offen              // 0000000111CC: E0701000 80027506
	buffer_store_dword v119, v6, s[8:11], 0 offen offset:128   // 0000000111D4: E0701080 80027706
	s_mov_b64 exec, s[36:37]                                   // 0000000111DC: BEFE0124
	v_mov_b32_e32 v6, v82                                      // 0000000111E0: 7E0C0352
	s_mov_b64 s[60:61], 0                                      // 0000000111E4: BEBC0180
	v_readlane_b32 s82, v3, 32                                 // 0000000111E8: D2890052 00014103
	s_and_b32 s82, s82, 0xffffff                               // 0000000111F0: 8652FF52 00FFFFFF
	s_cmp_lt_u32 s82, s66                                      // 0000000111F8: BF0A4252
	s_cselect_b32 s20, s36, s60                                // 0000000111FC: 85143C24
	v_readlane_b32 s82, v3, 33                                 // 000000011200: D2890052 00014303
	s_and_b32 s82, s82, 0xffffff                               // 000000011208: 8652FF52 00FFFFFF
	s_cmp_lt_u32 s82, s66                                      // 000000011210: BF0A4252
	s_cselect_b32 s21, s36, s60                                // 000000011214: 85153C24
	s_mov_b64 exec, s[20:21]                                   // 000000011218: BEFE0114
	buffer_store_dword v120, v6, s[8:11], 0 offen              // 00000001121C: E0701000 80027806
	buffer_store_dword v122, v6, s[8:11], 0 offen offset:128   // 000000011224: E0701080 80027A06
	s_mov_b64 exec, s[36:37]                                   // 00000001122C: BEFE0124
	v_mov_b32_e32 v6, v83                                      // 000000011230: 7E0C0353
	s_mov_b64 s[60:61], 0                                      // 000000011234: BEBC0180
	v_readlane_b32 s82, v3, 34                                 // 000000011238: D2890052 00014503
	s_and_b32 s82, s82, 0xffffff                               // 000000011240: 8652FF52 00FFFFFF
	s_cmp_lt_u32 s82, s66                                      // 000000011248: BF0A4252
	s_cselect_b32 s20, s36, s60                                // 00000001124C: 85143C24
	v_readlane_b32 s82, v3, 35                                 // 000000011250: D2890052 00014703
	s_and_b32 s82, s82, 0xffffff                               // 000000011258: 8652FF52 00FFFFFF
	s_cmp_lt_u32 s82, s66                                      // 000000011260: BF0A4252
	s_cselect_b32 s21, s36, s60                                // 000000011264: 85153C24
	s_mov_b64 exec, s[20:21]                                   // 000000011268: BEFE0114
	buffer_store_dword v121, v6, s[8:11], 0 offen              // 00000001126C: E0701000 80027906
	buffer_store_dword v123, v6, s[8:11], 0 offen offset:128   // 000000011274: E0701080 80027B06
	s_mov_b64 exec, s[36:37]                                   // 00000001127C: BEFE0124
	s_branch label_432A                                        // 000000011280: BF820906

0000000000011284 <label_3A24>:
	ds_write_b64 v20, v[88:89]                                 // 000000011284: D89A0000 00005814
	ds_write_b64 v20, v[92:93] offset:4352                     // 00000001128C: D89A1100 00005C14
	ds_write_b64 v20, v[96:97] offset:8704                     // 000000011294: D89A2200 00006014
	ds_write_b64 v20, v[100:101] offset:13056                  // 00000001129C: D89A3300 00006414
	ds_write_b64 v20, v[104:105] offset:17408                  // 0000000112A4: D89A4400 00006814
	ds_write_b64 v20, v[108:109] offset:21760                  // 0000000112AC: D89A5500 00006C14
	ds_write_b64 v20, v[112:113] offset:26112                  // 0000000112B4: D89A6600 00007014
	ds_write_b64 v20, v[116:117] offset:30464                  // 0000000112BC: D89A7700 00007414
	ds_write_b64 v20, v[120:121] offset:34816                  // 0000000112C4: D89A8800 00007814
	ds_write_b64 v20, v[124:125] offset:2176                   // 0000000112CC: D89A0880 00007C14
	ds_write_b64 v20, v[128:129] offset:6528                   // 0000000112D4: D89A1980 00008014
	ds_write_b64 v20, v[132:133] offset:10880                  // 0000000112DC: D89A2A80 00008414
	ds_write_b64 v20, v[136:137] offset:15232                  // 0000000112E4: D89A3B80 00008814
	ds_write_b64 v20, v[140:141] offset:19584                  // 0000000112EC: D89A4C80 00008C14
	ds_write_b64 v20, v[144:145] offset:23936                  // 0000000112F4: D89A5D80 00009014
	ds_write_b64 v20, v[148:149] offset:28288                  // 0000000112FC: D89A6E80 00009414
	ds_write_b64 v20, v[152:153] offset:32640                  // 000000011304: D89A7F80 00009814
	ds_write_b64 v20, v[156:157] offset:36992                  // 00000001130C: D89A9080 00009C14
	v_lshrrev_b32_e32 v4, 5, v0                                // 000000011314: 20080085
	v_xor_b32_e32 v5, 1, v4                                    // 000000011318: 2A0A0881
	s_mul_i32 s60, s65, 2                                      // 00000001131C: 923C8241
	s_cmp_eq_u32 s88, 0                                        // 000000011320: BF068058
	s_cselect_b32 s61, 1, 4                                    // 000000011324: 853D8481
	s_mul_i32 s60, s61, s60                                    // 000000011328: 923C3C3D
	v_readlane_b32 s82, v3, 0                                  // 00000001132C: D2890052 00010103
	s_lshr_b32 s61, s82, 24                                    // 000000011334: 8F3D9852
	s_and_b32 s82, s82, 0xffffff                               // 000000011338: 8652FF52 00FFFFFF
	s_mul_i32 s82, s82, s71                                    // 000000011340: 92524752
	s_mul_i32 s61, s60, s61                                    // 000000011344: 923D3D3C
	s_add_u32 s82, s82, s61                                    // 000000011348: 80523D52
	v_mul_lo_u32 v6, v5, s82                                   // 00000001134C: D2850006 0000A505
	v_readlane_b32 s82, v3, 1                                  // 000000011354: D2890052 00010303
	s_lshr_b32 s61, s82, 24                                    // 00000001135C: 8F3D9852
	s_and_b32 s82, s82, 0xffffff                               // 000000011360: 8652FF52 00FFFFFF
	s_mul_i32 s82, s82, s71                                    // 000000011368: 92524752
	s_mul_i32 s61, s60, s61                                    // 00000001136C: 923D3D3C
	s_add_u32 s82, s82, s61                                    // 000000011370: 80523D52
	v_mul_lo_u32 v7, v4, s82                                   // 000000011374: D2850007 0000A504
	v_add_u32_e32 v66, v6, v7                                  // 00000001137C: 68840F06
	v_readlane_b32 s82, v3, 2                                  // 000000011380: D2890052 00010503
	s_lshr_b32 s61, s82, 24                                    // 000000011388: 8F3D9852
	s_and_b32 s82, s82, 0xffffff                               // 00000001138C: 8652FF52 00FFFFFF
	s_mul_i32 s82, s82, s71                                    // 000000011394: 92524752
	s_mul_i32 s61, s60, s61                                    // 000000011398: 923D3D3C
	s_add_u32 s82, s82, s61                                    // 00000001139C: 80523D52
	v_mul_lo_u32 v6, v5, s82                                   // 0000000113A0: D2850006 0000A505
	v_readlane_b32 s82, v3, 3                                  // 0000000113A8: D2890052 00010703
	s_lshr_b32 s61, s82, 24                                    // 0000000113B0: 8F3D9852
	s_and_b32 s82, s82, 0xffffff                               // 0000000113B4: 8652FF52 00FFFFFF
	s_mul_i32 s82, s82, s71                                    // 0000000113BC: 92524752
	s_mul_i32 s61, s60, s61                                    // 0000000113C0: 923D3D3C
	s_add_u32 s82, s82, s61                                    // 0000000113C4: 80523D52
	v_mul_lo_u32 v7, v4, s82                                   // 0000000113C8: D2850007 0000A504
	v_add_u32_e32 v67, v6, v7                                  // 0000000113D0: 68860F06
	v_readlane_b32 s82, v3, 4                                  // 0000000113D4: D2890052 00010903
	s_lshr_b32 s61, s82, 24                                    // 0000000113DC: 8F3D9852
	s_and_b32 s82, s82, 0xffffff                               // 0000000113E0: 8652FF52 00FFFFFF
	s_mul_i32 s82, s82, s71                                    // 0000000113E8: 92524752
	s_mul_i32 s61, s60, s61                                    // 0000000113EC: 923D3D3C
	s_add_u32 s82, s82, s61                                    // 0000000113F0: 80523D52
	v_mul_lo_u32 v6, v5, s82                                   // 0000000113F4: D2850006 0000A505
	v_readlane_b32 s82, v3, 5                                  // 0000000113FC: D2890052 00010B03
	s_lshr_b32 s61, s82, 24                                    // 000000011404: 8F3D9852
	s_and_b32 s82, s82, 0xffffff                               // 000000011408: 8652FF52 00FFFFFF
	s_mul_i32 s82, s82, s71                                    // 000000011410: 92524752
	s_mul_i32 s61, s60, s61                                    // 000000011414: 923D3D3C
	s_add_u32 s82, s82, s61                                    // 000000011418: 80523D52
	v_mul_lo_u32 v7, v4, s82                                   // 00000001141C: D2850007 0000A504
	v_add_u32_e32 v68, v6, v7                                  // 000000011424: 68880F06
	v_readlane_b32 s82, v3, 6                                  // 000000011428: D2890052 00010D03
	s_lshr_b32 s61, s82, 24                                    // 000000011430: 8F3D9852
	s_and_b32 s82, s82, 0xffffff                               // 000000011434: 8652FF52 00FFFFFF
	s_mul_i32 s82, s82, s71                                    // 00000001143C: 92524752
	s_mul_i32 s61, s60, s61                                    // 000000011440: 923D3D3C
	s_add_u32 s82, s82, s61                                    // 000000011444: 80523D52
	v_mul_lo_u32 v6, v5, s82                                   // 000000011448: D2850006 0000A505
	v_readlane_b32 s82, v3, 7                                  // 000000011450: D2890052 00010F03
	s_lshr_b32 s61, s82, 24                                    // 000000011458: 8F3D9852
	s_and_b32 s82, s82, 0xffffff                               // 00000001145C: 8652FF52 00FFFFFF
	s_mul_i32 s82, s82, s71                                    // 000000011464: 92524752
	s_mul_i32 s61, s60, s61                                    // 000000011468: 923D3D3C
	s_add_u32 s82, s82, s61                                    // 00000001146C: 80523D52
	v_mul_lo_u32 v7, v4, s82                                   // 000000011470: D2850007 0000A504
	v_add_u32_e32 v69, v6, v7                                  // 000000011478: 688A0F06
	v_readlane_b32 s82, v3, 8                                  // 00000001147C: D2890052 00011103
	s_lshr_b32 s61, s82, 24                                    // 000000011484: 8F3D9852
	s_and_b32 s82, s82, 0xffffff                               // 000000011488: 8652FF52 00FFFFFF
	s_mul_i32 s82, s82, s71                                    // 000000011490: 92524752
	s_mul_i32 s61, s60, s61                                    // 000000011494: 923D3D3C
	s_add_u32 s82, s82, s61                                    // 000000011498: 80523D52
	v_mul_lo_u32 v6, v5, s82                                   // 00000001149C: D2850006 0000A505
	v_readlane_b32 s82, v3, 9                                  // 0000000114A4: D2890052 00011303
	s_lshr_b32 s61, s82, 24                                    // 0000000114AC: 8F3D9852
	s_and_b32 s82, s82, 0xffffff                               // 0000000114B0: 8652FF52 00FFFFFF
	s_mul_i32 s82, s82, s71                                    // 0000000114B8: 92524752
	s_mul_i32 s61, s60, s61                                    // 0000000114BC: 923D3D3C
	s_add_u32 s82, s82, s61                                    // 0000000114C0: 80523D52
	v_mul_lo_u32 v7, v4, s82                                   // 0000000114C4: D2850007 0000A504
	v_add_u32_e32 v70, v6, v7                                  // 0000000114CC: 688C0F06
	v_readlane_b32 s82, v3, 10                                 // 0000000114D0: D2890052 00011503
	s_lshr_b32 s61, s82, 24                                    // 0000000114D8: 8F3D9852
	s_and_b32 s82, s82, 0xffffff                               // 0000000114DC: 8652FF52 00FFFFFF
	s_mul_i32 s82, s82, s71                                    // 0000000114E4: 92524752
	s_mul_i32 s61, s60, s61                                    // 0000000114E8: 923D3D3C
	s_add_u32 s82, s82, s61                                    // 0000000114EC: 80523D52
	v_mul_lo_u32 v6, v5, s82                                   // 0000000114F0: D2850006 0000A505
	v_readlane_b32 s82, v3, 11                                 // 0000000114F8: D2890052 00011703
	s_lshr_b32 s61, s82, 24                                    // 000000011500: 8F3D9852
	s_and_b32 s82, s82, 0xffffff                               // 000000011504: 8652FF52 00FFFFFF
	s_mul_i32 s82, s82, s71                                    // 00000001150C: 92524752
	s_mul_i32 s61, s60, s61                                    // 000000011510: 923D3D3C
	s_add_u32 s82, s82, s61                                    // 000000011514: 80523D52
	v_mul_lo_u32 v7, v4, s82                                   // 000000011518: D2850007 0000A504
	v_add_u32_e32 v71, v6, v7                                  // 000000011520: 688E0F06
	v_readlane_b32 s82, v3, 12                                 // 000000011524: D2890052 00011903
	s_lshr_b32 s61, s82, 24                                    // 00000001152C: 8F3D9852
	s_and_b32 s82, s82, 0xffffff                               // 000000011530: 8652FF52 00FFFFFF
	s_mul_i32 s82, s82, s71                                    // 000000011538: 92524752
	s_mul_i32 s61, s60, s61                                    // 00000001153C: 923D3D3C
	s_add_u32 s82, s82, s61                                    // 000000011540: 80523D52
	v_mul_lo_u32 v6, v5, s82                                   // 000000011544: D2850006 0000A505
	v_readlane_b32 s82, v3, 13                                 // 00000001154C: D2890052 00011B03
	s_lshr_b32 s61, s82, 24                                    // 000000011554: 8F3D9852
	s_and_b32 s82, s82, 0xffffff                               // 000000011558: 8652FF52 00FFFFFF
	s_mul_i32 s82, s82, s71                                    // 000000011560: 92524752
	s_mul_i32 s61, s60, s61                                    // 000000011564: 923D3D3C
	s_add_u32 s82, s82, s61                                    // 000000011568: 80523D52
	v_mul_lo_u32 v7, v4, s82                                   // 00000001156C: D2850007 0000A504
	v_add_u32_e32 v72, v6, v7                                  // 000000011574: 68900F06
	v_readlane_b32 s82, v3, 14                                 // 000000011578: D2890052 00011D03
	s_lshr_b32 s61, s82, 24                                    // 000000011580: 8F3D9852
	s_and_b32 s82, s82, 0xffffff                               // 000000011584: 8652FF52 00FFFFFF
	s_mul_i32 s82, s82, s71                                    // 00000001158C: 92524752
	s_mul_i32 s61, s60, s61                                    // 000000011590: 923D3D3C
	s_add_u32 s82, s82, s61                                    // 000000011594: 80523D52
	v_mul_lo_u32 v6, v5, s82                                   // 000000011598: D2850006 0000A505
	v_readlane_b32 s82, v3, 15                                 // 0000000115A0: D2890052 00011F03
	s_lshr_b32 s61, s82, 24                                    // 0000000115A8: 8F3D9852
	s_and_b32 s82, s82, 0xffffff                               // 0000000115AC: 8652FF52 00FFFFFF
	s_mul_i32 s82, s82, s71                                    // 0000000115B4: 92524752
	s_mul_i32 s61, s60, s61                                    // 0000000115B8: 923D3D3C
	s_add_u32 s82, s82, s61                                    // 0000000115BC: 80523D52
	v_mul_lo_u32 v7, v4, s82                                   // 0000000115C0: D2850007 0000A504
	v_add_u32_e32 v73, v6, v7                                  // 0000000115C8: 68920F06
	v_readlane_b32 s82, v3, 16                                 // 0000000115CC: D2890052 00012103
	s_lshr_b32 s61, s82, 24                                    // 0000000115D4: 8F3D9852
	s_and_b32 s82, s82, 0xffffff                               // 0000000115D8: 8652FF52 00FFFFFF
	s_mul_i32 s82, s82, s71                                    // 0000000115E0: 92524752
	s_mul_i32 s61, s60, s61                                    // 0000000115E4: 923D3D3C
	s_add_u32 s82, s82, s61                                    // 0000000115E8: 80523D52
	v_mul_lo_u32 v6, v5, s82                                   // 0000000115EC: D2850006 0000A505
	v_readlane_b32 s82, v3, 17                                 // 0000000115F4: D2890052 00012303
	s_lshr_b32 s61, s82, 24                                    // 0000000115FC: 8F3D9852
	s_and_b32 s82, s82, 0xffffff                               // 000000011600: 8652FF52 00FFFFFF
	s_mul_i32 s82, s82, s71                                    // 000000011608: 92524752
	s_mul_i32 s61, s60, s61                                    // 00000001160C: 923D3D3C
	s_add_u32 s82, s82, s61                                    // 000000011610: 80523D52
	v_mul_lo_u32 v7, v4, s82                                   // 000000011614: D2850007 0000A504
	v_add_u32_e32 v74, v6, v7                                  // 00000001161C: 68940F06
	v_readlane_b32 s82, v3, 18                                 // 000000011620: D2890052 00012503
	s_lshr_b32 s61, s82, 24                                    // 000000011628: 8F3D9852
	s_and_b32 s82, s82, 0xffffff                               // 00000001162C: 8652FF52 00FFFFFF
	s_mul_i32 s82, s82, s71                                    // 000000011634: 92524752
	s_mul_i32 s61, s60, s61                                    // 000000011638: 923D3D3C
	s_add_u32 s82, s82, s61                                    // 00000001163C: 80523D52
	v_mul_lo_u32 v6, v5, s82                                   // 000000011640: D2850006 0000A505
	v_readlane_b32 s82, v3, 19                                 // 000000011648: D2890052 00012703
	s_lshr_b32 s61, s82, 24                                    // 000000011650: 8F3D9852
	s_and_b32 s82, s82, 0xffffff                               // 000000011654: 8652FF52 00FFFFFF
	s_mul_i32 s82, s82, s71                                    // 00000001165C: 92524752
	s_mul_i32 s61, s60, s61                                    // 000000011660: 923D3D3C
	s_add_u32 s82, s82, s61                                    // 000000011664: 80523D52
	v_mul_lo_u32 v7, v4, s82                                   // 000000011668: D2850007 0000A504
	v_add_u32_e32 v75, v6, v7                                  // 000000011670: 68960F06
	v_readlane_b32 s82, v3, 20                                 // 000000011674: D2890052 00012903
	s_lshr_b32 s61, s82, 24                                    // 00000001167C: 8F3D9852
	s_and_b32 s82, s82, 0xffffff                               // 000000011680: 8652FF52 00FFFFFF
	s_mul_i32 s82, s82, s71                                    // 000000011688: 92524752
	s_mul_i32 s61, s60, s61                                    // 00000001168C: 923D3D3C
	s_add_u32 s82, s82, s61                                    // 000000011690: 80523D52
	v_mul_lo_u32 v6, v5, s82                                   // 000000011694: D2850006 0000A505
	v_readlane_b32 s82, v3, 21                                 // 00000001169C: D2890052 00012B03
	s_lshr_b32 s61, s82, 24                                    // 0000000116A4: 8F3D9852
	s_and_b32 s82, s82, 0xffffff                               // 0000000116A8: 8652FF52 00FFFFFF
	s_mul_i32 s82, s82, s71                                    // 0000000116B0: 92524752
	s_mul_i32 s61, s60, s61                                    // 0000000116B4: 923D3D3C
	s_add_u32 s82, s82, s61                                    // 0000000116B8: 80523D52
	v_mul_lo_u32 v7, v4, s82                                   // 0000000116BC: D2850007 0000A504
	v_add_u32_e32 v76, v6, v7                                  // 0000000116C4: 68980F06
	v_readlane_b32 s82, v3, 22                                 // 0000000116C8: D2890052 00012D03
	s_lshr_b32 s61, s82, 24                                    // 0000000116D0: 8F3D9852
	s_and_b32 s82, s82, 0xffffff                               // 0000000116D4: 8652FF52 00FFFFFF
	s_mul_i32 s82, s82, s71                                    // 0000000116DC: 92524752
	s_mul_i32 s61, s60, s61                                    // 0000000116E0: 923D3D3C
	s_add_u32 s82, s82, s61                                    // 0000000116E4: 80523D52
	v_mul_lo_u32 v6, v5, s82                                   // 0000000116E8: D2850006 0000A505
	v_readlane_b32 s82, v3, 23                                 // 0000000116F0: D2890052 00012F03
	s_lshr_b32 s61, s82, 24                                    // 0000000116F8: 8F3D9852
	s_and_b32 s82, s82, 0xffffff                               // 0000000116FC: 8652FF52 00FFFFFF
	s_mul_i32 s82, s82, s71                                    // 000000011704: 92524752
	s_mul_i32 s61, s60, s61                                    // 000000011708: 923D3D3C
	s_add_u32 s82, s82, s61                                    // 00000001170C: 80523D52
	v_mul_lo_u32 v7, v4, s82                                   // 000000011710: D2850007 0000A504
	v_add_u32_e32 v77, v6, v7                                  // 000000011718: 689A0F06
	v_readlane_b32 s82, v3, 24                                 // 00000001171C: D2890052 00013103
	s_lshr_b32 s61, s82, 24                                    // 000000011724: 8F3D9852
	s_and_b32 s82, s82, 0xffffff                               // 000000011728: 8652FF52 00FFFFFF
	s_mul_i32 s82, s82, s71                                    // 000000011730: 92524752
	s_mul_i32 s61, s60, s61                                    // 000000011734: 923D3D3C
	s_add_u32 s82, s82, s61                                    // 000000011738: 80523D52
	v_mul_lo_u32 v6, v5, s82                                   // 00000001173C: D2850006 0000A505
	v_readlane_b32 s82, v3, 25                                 // 000000011744: D2890052 00013303
	s_lshr_b32 s61, s82, 24                                    // 00000001174C: 8F3D9852
	s_and_b32 s82, s82, 0xffffff                               // 000000011750: 8652FF52 00FFFFFF
	s_mul_i32 s82, s82, s71                                    // 000000011758: 92524752
	s_mul_i32 s61, s60, s61                                    // 00000001175C: 923D3D3C
	s_add_u32 s82, s82, s61                                    // 000000011760: 80523D52
	v_mul_lo_u32 v7, v4, s82                                   // 000000011764: D2850007 0000A504
	v_add_u32_e32 v78, v6, v7                                  // 00000001176C: 689C0F06
	v_readlane_b32 s82, v3, 26                                 // 000000011770: D2890052 00013503
	s_lshr_b32 s61, s82, 24                                    // 000000011778: 8F3D9852
	s_and_b32 s82, s82, 0xffffff                               // 00000001177C: 8652FF52 00FFFFFF
	s_mul_i32 s82, s82, s71                                    // 000000011784: 92524752
	s_mul_i32 s61, s60, s61                                    // 000000011788: 923D3D3C
	s_add_u32 s82, s82, s61                                    // 00000001178C: 80523D52
	v_mul_lo_u32 v6, v5, s82                                   // 000000011790: D2850006 0000A505
	v_readlane_b32 s82, v3, 27                                 // 000000011798: D2890052 00013703
	s_lshr_b32 s61, s82, 24                                    // 0000000117A0: 8F3D9852
	s_and_b32 s82, s82, 0xffffff                               // 0000000117A4: 8652FF52 00FFFFFF
	s_mul_i32 s82, s82, s71                                    // 0000000117AC: 92524752
	s_mul_i32 s61, s60, s61                                    // 0000000117B0: 923D3D3C
	s_add_u32 s82, s82, s61                                    // 0000000117B4: 80523D52
	v_mul_lo_u32 v7, v4, s82                                   // 0000000117B8: D2850007 0000A504
	v_add_u32_e32 v79, v6, v7                                  // 0000000117C0: 689E0F06
	v_readlane_b32 s82, v3, 28                                 // 0000000117C4: D2890052 00013903
	s_lshr_b32 s61, s82, 24                                    // 0000000117CC: 8F3D9852
	s_and_b32 s82, s82, 0xffffff                               // 0000000117D0: 8652FF52 00FFFFFF
	s_mul_i32 s82, s82, s71                                    // 0000000117D8: 92524752
	s_mul_i32 s61, s60, s61                                    // 0000000117DC: 923D3D3C
	s_add_u32 s82, s82, s61                                    // 0000000117E0: 80523D52
	v_mul_lo_u32 v6, v5, s82                                   // 0000000117E4: D2850006 0000A505
	v_readlane_b32 s82, v3, 29                                 // 0000000117EC: D2890052 00013B03
	s_lshr_b32 s61, s82, 24                                    // 0000000117F4: 8F3D9852
	s_and_b32 s82, s82, 0xffffff                               // 0000000117F8: 8652FF52 00FFFFFF
	s_mul_i32 s82, s82, s71                                    // 000000011800: 92524752
	s_mul_i32 s61, s60, s61                                    // 000000011804: 923D3D3C
	s_add_u32 s82, s82, s61                                    // 000000011808: 80523D52
	v_mul_lo_u32 v7, v4, s82                                   // 00000001180C: D2850007 0000A504
	v_add_u32_e32 v80, v6, v7                                  // 000000011814: 68A00F06
	v_readlane_b32 s82, v3, 30                                 // 000000011818: D2890052 00013D03
	s_lshr_b32 s61, s82, 24                                    // 000000011820: 8F3D9852
	s_and_b32 s82, s82, 0xffffff                               // 000000011824: 8652FF52 00FFFFFF
	s_mul_i32 s82, s82, s71                                    // 00000001182C: 92524752
	s_mul_i32 s61, s60, s61                                    // 000000011830: 923D3D3C
	s_add_u32 s82, s82, s61                                    // 000000011834: 80523D52
	v_mul_lo_u32 v6, v5, s82                                   // 000000011838: D2850006 0000A505
	v_readlane_b32 s82, v3, 31                                 // 000000011840: D2890052 00013F03
	s_lshr_b32 s61, s82, 24                                    // 000000011848: 8F3D9852
	s_and_b32 s82, s82, 0xffffff                               // 00000001184C: 8652FF52 00FFFFFF
	s_mul_i32 s82, s82, s71                                    // 000000011854: 92524752
	s_mul_i32 s61, s60, s61                                    // 000000011858: 923D3D3C
	s_add_u32 s82, s82, s61                                    // 00000001185C: 80523D52
	v_mul_lo_u32 v7, v4, s82                                   // 000000011860: D2850007 0000A504
	v_add_u32_e32 v81, v6, v7                                  // 000000011868: 68A20F06
	v_readlane_b32 s82, v3, 32                                 // 00000001186C: D2890052 00014103
	s_lshr_b32 s61, s82, 24                                    // 000000011874: 8F3D9852
	s_and_b32 s82, s82, 0xffffff                               // 000000011878: 8652FF52 00FFFFFF
	s_mul_i32 s82, s82, s71                                    // 000000011880: 92524752
	s_mul_i32 s61, s60, s61                                    // 000000011884: 923D3D3C
	s_add_u32 s82, s82, s61                                    // 000000011888: 80523D52
	v_mul_lo_u32 v6, v5, s82                                   // 00000001188C: D2850006 0000A505
	v_readlane_b32 s82, v3, 33                                 // 000000011894: D2890052 00014303
	s_lshr_b32 s61, s82, 24                                    // 00000001189C: 8F3D9852
	s_and_b32 s82, s82, 0xffffff                               // 0000000118A0: 8652FF52 00FFFFFF
	s_mul_i32 s82, s82, s71                                    // 0000000118A8: 92524752
	s_mul_i32 s61, s60, s61                                    // 0000000118AC: 923D3D3C
	s_add_u32 s82, s82, s61                                    // 0000000118B0: 80523D52
	v_mul_lo_u32 v7, v4, s82                                   // 0000000118B4: D2850007 0000A504
	v_add_u32_e32 v82, v6, v7                                  // 0000000118BC: 68A40F06
	v_readlane_b32 s82, v3, 34                                 // 0000000118C0: D2890052 00014503
	s_lshr_b32 s61, s82, 24                                    // 0000000118C8: 8F3D9852
	s_and_b32 s82, s82, 0xffffff                               // 0000000118CC: 8652FF52 00FFFFFF
	s_mul_i32 s82, s82, s71                                    // 0000000118D4: 92524752
	s_mul_i32 s61, s60, s61                                    // 0000000118D8: 923D3D3C
	s_add_u32 s82, s82, s61                                    // 0000000118DC: 80523D52
	v_mul_lo_u32 v6, v5, s82                                   // 0000000118E0: D2850006 0000A505
	v_readlane_b32 s82, v3, 35                                 // 0000000118E8: D2890052 00014703
	s_lshr_b32 s61, s82, 24                                    // 0000000118F0: 8F3D9852
	s_and_b32 s82, s82, 0xffffff                               // 0000000118F4: 8652FF52 00FFFFFF
	s_mul_i32 s82, s82, s71                                    // 0000000118FC: 92524752
	s_mul_i32 s61, s60, s61                                    // 000000011900: 923D3D3C
	s_add_u32 s82, s82, s61                                    // 000000011904: 80523D52
	v_mul_lo_u32 v7, v4, s82                                   // 000000011908: D2850007 0000A504
	v_add_u32_e32 v83, v6, v7                                  // 000000011910: 68A60F06
	v_and_b32_e32 v4, 31, v0                                   // 000000011914: 2608009F
	v_lshrrev_b32_e32 v4, 1, v4                                // 000000011918: 20080881
	s_cmp_eq_u32 s88, 0                                        // 00000001191C: BF068058
	s_cselect_b32 s61, 2, 4                                    // 000000011920: 853D8482
	v_mul_lo_u32 v4, v4, s61                                   // 000000011924: D2850004 00007B04
	v_and_b32_e64 v5, v0, 1                                    // 00000001192C: D1130005 00010300
	v_add_u32_e32 v4, v4, v5                                   // 000000011934: 68080B04
	v_lshlrev_b32_e32 v4, 2, v4                                // 000000011938: 24080882
	v_add_u32_e32 v66, v66, v4                                 // 00000001193C: 68840942
	v_add_u32_e32 v67, v67, v4                                 // 000000011940: 68860943
	v_add_u32_e32 v68, v68, v4                                 // 000000011944: 68880944
	v_add_u32_e32 v69, v69, v4                                 // 000000011948: 688A0945
	v_add_u32_e32 v70, v70, v4                                 // 00000001194C: 688C0946
	v_add_u32_e32 v71, v71, v4                                 // 000000011950: 688E0947
	v_add_u32_e32 v72, v72, v4                                 // 000000011954: 68900948
	v_add_u32_e32 v73, v73, v4                                 // 000000011958: 68920949
	v_add_u32_e32 v74, v74, v4                                 // 00000001195C: 6894094A
	v_add_u32_e32 v75, v75, v4                                 // 000000011960: 6896094B
	v_add_u32_e32 v76, v76, v4                                 // 000000011964: 6898094C
	v_add_u32_e32 v77, v77, v4                                 // 000000011968: 689A094D
	v_add_u32_e32 v78, v78, v4                                 // 00000001196C: 689C094E
	v_add_u32_e32 v79, v79, v4                                 // 000000011970: 689E094F
	v_add_u32_e32 v80, v80, v4                                 // 000000011974: 68A00950
	v_add_u32_e32 v81, v81, v4                                 // 000000011978: 68A20951
	v_add_u32_e32 v82, v82, v4                                 // 00000001197C: 68A40952
	v_add_u32_e32 v83, v83, v4                                 // 000000011980: 68A60953
	s_waitcnt lgkmcnt(0)                                       // 000000011984: BF8CC07F
	s_barrier                                                  // 000000011988: BF8A0000
	ds_read_b32 v88, v21                                       // 00000001198C: D86C0000 58000015
	ds_read_b32 v89, v21 offset:64                             // 000000011994: D86C0040 59000015
	ds_read_b32 v92, v21 offset:2176                           // 00000001199C: D86C0880 5C000015
	ds_read_b32 v93, v21 offset:2240                           // 0000000119A4: D86C08C0 5D000015
	ds_read_b32 v96, v21 offset:4352                           // 0000000119AC: D86C1100 60000015
	ds_read_b32 v97, v21 offset:4416                           // 0000000119B4: D86C1140 61000015
	ds_read_b32 v100, v21 offset:6528                          // 0000000119BC: D86C1980 64000015
	ds_read_b32 v101, v21 offset:6592                          // 0000000119C4: D86C19C0 65000015
	ds_read_b32 v104, v21 offset:8704                          // 0000000119CC: D86C2200 68000015
	ds_read_b32 v105, v21 offset:8768                          // 0000000119D4: D86C2240 69000015
	ds_read_b32 v108, v21 offset:10880                         // 0000000119DC: D86C2A80 6C000015
	ds_read_b32 v109, v21 offset:10944                         // 0000000119E4: D86C2AC0 6D000015
	ds_read_b32 v112, v21 offset:13056                         // 0000000119EC: D86C3300 70000015
	ds_read_b32 v113, v21 offset:13120                         // 0000000119F4: D86C3340 71000015
	ds_read_b32 v116, v21 offset:15232                         // 0000000119FC: D86C3B80 74000015
	ds_read_b32 v117, v21 offset:15296                         // 000000011A04: D86C3BC0 75000015
	ds_read_b32 v120, v21 offset:17408                         // 000000011A0C: D86C4400 78000015
	ds_read_b32 v121, v21 offset:17472                         // 000000011A14: D86C4440 79000015
	ds_read_b32 v124, v21 offset:19584                         // 000000011A1C: D86C4C80 7C000015
	ds_read_b32 v125, v21 offset:19648                         // 000000011A24: D86C4CC0 7D000015
	ds_read_b32 v128, v21 offset:21760                         // 000000011A2C: D86C5500 80000015
	ds_read_b32 v129, v21 offset:21824                         // 000000011A34: D86C5540 81000015
	ds_read_b32 v132, v21 offset:23936                         // 000000011A3C: D86C5D80 84000015
	ds_read_b32 v133, v21 offset:24000                         // 000000011A44: D86C5DC0 85000015
	ds_read_b32 v136, v21 offset:26112                         // 000000011A4C: D86C6600 88000015
	ds_read_b32 v137, v21 offset:26176                         // 000000011A54: D86C6640 89000015
	ds_read_b32 v140, v21 offset:28288                         // 000000011A5C: D86C6E80 8C000015
	ds_read_b32 v141, v21 offset:28352                         // 000000011A64: D86C6EC0 8D000015
	ds_read_b32 v144, v21 offset:30464                         // 000000011A6C: D86C7700 90000015
	ds_read_b32 v145, v21 offset:30528                         // 000000011A74: D86C7740 91000015
	ds_read_b32 v148, v21 offset:32640                         // 000000011A7C: D86C7F80 94000015
	ds_read_b32 v149, v21 offset:32704                         // 000000011A84: D86C7FC0 95000015
	ds_read_b32 v152, v21 offset:34816                         // 000000011A8C: D86C8800 98000015
	ds_read_b32 v153, v21 offset:34880                         // 000000011A94: D86C8840 99000015
	ds_read_b32 v156, v21 offset:36992                         // 000000011A9C: D86C9080 9C000015
	ds_read_b32 v157, v21 offset:37056                         // 000000011AA4: D86C90C0 9D000015
	s_waitcnt lgkmcnt(0)                                       // 000000011AAC: BF8CC07F
	s_mov_b32 s36, -1                                          // 000000011AB0: BEA400C1
	s_mov_b32 s37, -1                                          // 000000011AB4: BEA500C1
	v_mov_b32_e32 v7, 0                                        // 000000011AB8: 7E0E0280
	s_mov_b64 exec, s[36:37]                                   // 000000011ABC: BEFE0124
	v_mov_b32_e32 v6, v66                                      // 000000011AC0: 7E0C0342
	s_mov_b64 s[60:61], 0                                      // 000000011AC4: BEBC0180
	v_readlane_b32 s82, v3, 0                                  // 000000011AC8: D2890052 00010103
	s_and_b32 s82, s82, 0xffffff                               // 000000011AD0: 8652FF52 00FFFFFF
	s_cmp_lt_u32 s82, s66                                      // 000000011AD8: BF0A4252
	s_cselect_b32 s20, s36, s60                                // 000000011ADC: 85143C24
	v_readlane_b32 s82, v3, 1                                  // 000000011AE0: D2890052 00010303
	s_and_b32 s82, s82, 0xffffff                               // 000000011AE8: 8652FF52 00FFFFFF
	s_cmp_lt_u32 s82, s66                                      // 000000011AF0: BF0A4252
	s_cselect_b32 s21, s36, s60                                // 000000011AF4: 85153C24
	s_mov_b64 exec, s[20:21]                                   // 000000011AF8: BEFE0114
	global_atomic_add_f32 v6, v88, s[8:9]                      // 000000011AFC: DD348000 00085806
	global_atomic_add_f32 v6, v92, s[8:9] offset:256           // 000000011B04: DD348100 00085C06
	s_mov_b64 exec, s[36:37]                                   // 000000011B0C: BEFE0124
	v_mov_b32_e32 v6, v67                                      // 000000011B10: 7E0C0343
	s_mov_b64 s[60:61], 0                                      // 000000011B14: BEBC0180
	v_readlane_b32 s82, v3, 2                                  // 000000011B18: D2890052 00010503
	s_and_b32 s82, s82, 0xffffff                               // 000000011B20: 8652FF52 00FFFFFF
	s_cmp_lt_u32 s82, s66                                      // 000000011B28: BF0A4252
	s_cselect_b32 s20, s36, s60                                // 000000011B2C: 85143C24
	v_readlane_b32 s82, v3, 3                                  // 000000011B30: D2890052 00010703
	s_and_b32 s82, s82, 0xffffff                               // 000000011B38: 8652FF52 00FFFFFF
	s_cmp_lt_u32 s82, s66                                      // 000000011B40: BF0A4252
	s_cselect_b32 s21, s36, s60                                // 000000011B44: 85153C24
	s_mov_b64 exec, s[20:21]                                   // 000000011B48: BEFE0114
	global_atomic_add_f32 v6, v89, s[8:9]                      // 000000011B4C: DD348000 00085906
	global_atomic_add_f32 v6, v93, s[8:9] offset:256           // 000000011B54: DD348100 00085D06
	s_mov_b64 exec, s[36:37]                                   // 000000011B5C: BEFE0124
	v_mov_b32_e32 v6, v68                                      // 000000011B60: 7E0C0344
	s_mov_b64 s[60:61], 0                                      // 000000011B64: BEBC0180
	v_readlane_b32 s82, v3, 4                                  // 000000011B68: D2890052 00010903
	s_and_b32 s82, s82, 0xffffff                               // 000000011B70: 8652FF52 00FFFFFF
	s_cmp_lt_u32 s82, s66                                      // 000000011B78: BF0A4252
	s_cselect_b32 s20, s36, s60                                // 000000011B7C: 85143C24
	v_readlane_b32 s82, v3, 5                                  // 000000011B80: D2890052 00010B03
	s_and_b32 s82, s82, 0xffffff                               // 000000011B88: 8652FF52 00FFFFFF
	s_cmp_lt_u32 s82, s66                                      // 000000011B90: BF0A4252
	s_cselect_b32 s21, s36, s60                                // 000000011B94: 85153C24
	s_mov_b64 exec, s[20:21]                                   // 000000011B98: BEFE0114
	global_atomic_add_f32 v6, v96, s[8:9]                      // 000000011B9C: DD348000 00086006
	global_atomic_add_f32 v6, v100, s[8:9] offset:256          // 000000011BA4: DD348100 00086406
	s_mov_b64 exec, s[36:37]                                   // 000000011BAC: BEFE0124
	v_mov_b32_e32 v6, v69                                      // 000000011BB0: 7E0C0345
	s_mov_b64 s[60:61], 0                                      // 000000011BB4: BEBC0180
	v_readlane_b32 s82, v3, 6                                  // 000000011BB8: D2890052 00010D03
	s_and_b32 s82, s82, 0xffffff                               // 000000011BC0: 8652FF52 00FFFFFF
	s_cmp_lt_u32 s82, s66                                      // 000000011BC8: BF0A4252
	s_cselect_b32 s20, s36, s60                                // 000000011BCC: 85143C24
	v_readlane_b32 s82, v3, 7                                  // 000000011BD0: D2890052 00010F03
	s_and_b32 s82, s82, 0xffffff                               // 000000011BD8: 8652FF52 00FFFFFF
	s_cmp_lt_u32 s82, s66                                      // 000000011BE0: BF0A4252
	s_cselect_b32 s21, s36, s60                                // 000000011BE4: 85153C24
	s_mov_b64 exec, s[20:21]                                   // 000000011BE8: BEFE0114
	global_atomic_add_f32 v6, v97, s[8:9]                      // 000000011BEC: DD348000 00086106
	global_atomic_add_f32 v6, v101, s[8:9] offset:256          // 000000011BF4: DD348100 00086506
	s_mov_b64 exec, s[36:37]                                   // 000000011BFC: BEFE0124
	v_mov_b32_e32 v6, v70                                      // 000000011C00: 7E0C0346
	s_mov_b64 s[60:61], 0                                      // 000000011C04: BEBC0180
	v_readlane_b32 s82, v3, 8                                  // 000000011C08: D2890052 00011103
	s_and_b32 s82, s82, 0xffffff                               // 000000011C10: 8652FF52 00FFFFFF
	s_cmp_lt_u32 s82, s66                                      // 000000011C18: BF0A4252
	s_cselect_b32 s20, s36, s60                                // 000000011C1C: 85143C24
	v_readlane_b32 s82, v3, 9                                  // 000000011C20: D2890052 00011303
	s_and_b32 s82, s82, 0xffffff                               // 000000011C28: 8652FF52 00FFFFFF
	s_cmp_lt_u32 s82, s66                                      // 000000011C30: BF0A4252
	s_cselect_b32 s21, s36, s60                                // 000000011C34: 85153C24
	s_mov_b64 exec, s[20:21]                                   // 000000011C38: BEFE0114
	global_atomic_add_f32 v6, v104, s[8:9]                     // 000000011C3C: DD348000 00086806
	global_atomic_add_f32 v6, v108, s[8:9] offset:256          // 000000011C44: DD348100 00086C06
	s_mov_b64 exec, s[36:37]                                   // 000000011C4C: BEFE0124
	v_mov_b32_e32 v6, v71                                      // 000000011C50: 7E0C0347
	s_mov_b64 s[60:61], 0                                      // 000000011C54: BEBC0180
	v_readlane_b32 s82, v3, 10                                 // 000000011C58: D2890052 00011503
	s_and_b32 s82, s82, 0xffffff                               // 000000011C60: 8652FF52 00FFFFFF
	s_cmp_lt_u32 s82, s66                                      // 000000011C68: BF0A4252
	s_cselect_b32 s20, s36, s60                                // 000000011C6C: 85143C24
	v_readlane_b32 s82, v3, 11                                 // 000000011C70: D2890052 00011703
	s_and_b32 s82, s82, 0xffffff                               // 000000011C78: 8652FF52 00FFFFFF
	s_cmp_lt_u32 s82, s66                                      // 000000011C80: BF0A4252
	s_cselect_b32 s21, s36, s60                                // 000000011C84: 85153C24
	s_mov_b64 exec, s[20:21]                                   // 000000011C88: BEFE0114
	global_atomic_add_f32 v6, v105, s[8:9]                     // 000000011C8C: DD348000 00086906
	global_atomic_add_f32 v6, v109, s[8:9] offset:256          // 000000011C94: DD348100 00086D06
	s_mov_b64 exec, s[36:37]                                   // 000000011C9C: BEFE0124
	v_mov_b32_e32 v6, v72                                      // 000000011CA0: 7E0C0348
	s_mov_b64 s[60:61], 0                                      // 000000011CA4: BEBC0180
	v_readlane_b32 s82, v3, 12                                 // 000000011CA8: D2890052 00011903
	s_and_b32 s82, s82, 0xffffff                               // 000000011CB0: 8652FF52 00FFFFFF
	s_cmp_lt_u32 s82, s66                                      // 000000011CB8: BF0A4252
	s_cselect_b32 s20, s36, s60                                // 000000011CBC: 85143C24
	v_readlane_b32 s82, v3, 13                                 // 000000011CC0: D2890052 00011B03
	s_and_b32 s82, s82, 0xffffff                               // 000000011CC8: 8652FF52 00FFFFFF
	s_cmp_lt_u32 s82, s66                                      // 000000011CD0: BF0A4252
	s_cselect_b32 s21, s36, s60                                // 000000011CD4: 85153C24
	s_mov_b64 exec, s[20:21]                                   // 000000011CD8: BEFE0114
	global_atomic_add_f32 v6, v112, s[8:9]                     // 000000011CDC: DD348000 00087006
	global_atomic_add_f32 v6, v116, s[8:9] offset:256          // 000000011CE4: DD348100 00087406
	s_mov_b64 exec, s[36:37]                                   // 000000011CEC: BEFE0124
	v_mov_b32_e32 v6, v73                                      // 000000011CF0: 7E0C0349
	s_mov_b64 s[60:61], 0                                      // 000000011CF4: BEBC0180
	v_readlane_b32 s82, v3, 14                                 // 000000011CF8: D2890052 00011D03
	s_and_b32 s82, s82, 0xffffff                               // 000000011D00: 8652FF52 00FFFFFF
	s_cmp_lt_u32 s82, s66                                      // 000000011D08: BF0A4252
	s_cselect_b32 s20, s36, s60                                // 000000011D0C: 85143C24
	v_readlane_b32 s82, v3, 15                                 // 000000011D10: D2890052 00011F03
	s_and_b32 s82, s82, 0xffffff                               // 000000011D18: 8652FF52 00FFFFFF
	s_cmp_lt_u32 s82, s66                                      // 000000011D20: BF0A4252
	s_cselect_b32 s21, s36, s60                                // 000000011D24: 85153C24
	s_mov_b64 exec, s[20:21]                                   // 000000011D28: BEFE0114
	global_atomic_add_f32 v6, v113, s[8:9]                     // 000000011D2C: DD348000 00087106
	global_atomic_add_f32 v6, v117, s[8:9] offset:256          // 000000011D34: DD348100 00087506
	s_mov_b64 exec, s[36:37]                                   // 000000011D3C: BEFE0124
	v_mov_b32_e32 v6, v74                                      // 000000011D40: 7E0C034A
	s_mov_b64 s[60:61], 0                                      // 000000011D44: BEBC0180
	v_readlane_b32 s82, v3, 16                                 // 000000011D48: D2890052 00012103
	s_and_b32 s82, s82, 0xffffff                               // 000000011D50: 8652FF52 00FFFFFF
	s_cmp_lt_u32 s82, s66                                      // 000000011D58: BF0A4252
	s_cselect_b32 s20, s36, s60                                // 000000011D5C: 85143C24
	v_readlane_b32 s82, v3, 17                                 // 000000011D60: D2890052 00012303
	s_and_b32 s82, s82, 0xffffff                               // 000000011D68: 8652FF52 00FFFFFF
	s_cmp_lt_u32 s82, s66                                      // 000000011D70: BF0A4252
	s_cselect_b32 s21, s36, s60                                // 000000011D74: 85153C24
	s_mov_b64 exec, s[20:21]                                   // 000000011D78: BEFE0114
	global_atomic_add_f32 v6, v120, s[8:9]                     // 000000011D7C: DD348000 00087806
	global_atomic_add_f32 v6, v124, s[8:9] offset:256          // 000000011D84: DD348100 00087C06
	s_mov_b64 exec, s[36:37]                                   // 000000011D8C: BEFE0124
	v_mov_b32_e32 v6, v75                                      // 000000011D90: 7E0C034B
	s_mov_b64 s[60:61], 0                                      // 000000011D94: BEBC0180
	v_readlane_b32 s82, v3, 18                                 // 000000011D98: D2890052 00012503
	s_and_b32 s82, s82, 0xffffff                               // 000000011DA0: 8652FF52 00FFFFFF
	s_cmp_lt_u32 s82, s66                                      // 000000011DA8: BF0A4252
	s_cselect_b32 s20, s36, s60                                // 000000011DAC: 85143C24
	v_readlane_b32 s82, v3, 19                                 // 000000011DB0: D2890052 00012703
	s_and_b32 s82, s82, 0xffffff                               // 000000011DB8: 8652FF52 00FFFFFF
	s_cmp_lt_u32 s82, s66                                      // 000000011DC0: BF0A4252
	s_cselect_b32 s21, s36, s60                                // 000000011DC4: 85153C24
	s_mov_b64 exec, s[20:21]                                   // 000000011DC8: BEFE0114
	global_atomic_add_f32 v6, v121, s[8:9]                     // 000000011DCC: DD348000 00087906
	global_atomic_add_f32 v6, v125, s[8:9] offset:256          // 000000011DD4: DD348100 00087D06
	s_mov_b64 exec, s[36:37]                                   // 000000011DDC: BEFE0124
	v_mov_b32_e32 v6, v76                                      // 000000011DE0: 7E0C034C
	s_mov_b64 s[60:61], 0                                      // 000000011DE4: BEBC0180
	v_readlane_b32 s82, v3, 20                                 // 000000011DE8: D2890052 00012903
	s_and_b32 s82, s82, 0xffffff                               // 000000011DF0: 8652FF52 00FFFFFF
	s_cmp_lt_u32 s82, s66                                      // 000000011DF8: BF0A4252
	s_cselect_b32 s20, s36, s60                                // 000000011DFC: 85143C24
	v_readlane_b32 s82, v3, 21                                 // 000000011E00: D2890052 00012B03
	s_and_b32 s82, s82, 0xffffff                               // 000000011E08: 8652FF52 00FFFFFF
	s_cmp_lt_u32 s82, s66                                      // 000000011E10: BF0A4252
	s_cselect_b32 s21, s36, s60                                // 000000011E14: 85153C24
	s_mov_b64 exec, s[20:21]                                   // 000000011E18: BEFE0114
	global_atomic_add_f32 v6, v128, s[8:9]                     // 000000011E1C: DD348000 00088006
	global_atomic_add_f32 v6, v132, s[8:9] offset:256          // 000000011E24: DD348100 00088406
	s_mov_b64 exec, s[36:37]                                   // 000000011E2C: BEFE0124
	v_mov_b32_e32 v6, v77                                      // 000000011E30: 7E0C034D
	s_mov_b64 s[60:61], 0                                      // 000000011E34: BEBC0180
	v_readlane_b32 s82, v3, 22                                 // 000000011E38: D2890052 00012D03
	s_and_b32 s82, s82, 0xffffff                               // 000000011E40: 8652FF52 00FFFFFF
	s_cmp_lt_u32 s82, s66                                      // 000000011E48: BF0A4252
	s_cselect_b32 s20, s36, s60                                // 000000011E4C: 85143C24
	v_readlane_b32 s82, v3, 23                                 // 000000011E50: D2890052 00012F03
	s_and_b32 s82, s82, 0xffffff                               // 000000011E58: 8652FF52 00FFFFFF
	s_cmp_lt_u32 s82, s66                                      // 000000011E60: BF0A4252
	s_cselect_b32 s21, s36, s60                                // 000000011E64: 85153C24
	s_mov_b64 exec, s[20:21]                                   // 000000011E68: BEFE0114
	global_atomic_add_f32 v6, v129, s[8:9]                     // 000000011E6C: DD348000 00088106
	global_atomic_add_f32 v6, v133, s[8:9] offset:256          // 000000011E74: DD348100 00088506
	s_mov_b64 exec, s[36:37]                                   // 000000011E7C: BEFE0124
	v_mov_b32_e32 v6, v78                                      // 000000011E80: 7E0C034E
	s_mov_b64 s[60:61], 0                                      // 000000011E84: BEBC0180
	v_readlane_b32 s82, v3, 24                                 // 000000011E88: D2890052 00013103
	s_and_b32 s82, s82, 0xffffff                               // 000000011E90: 8652FF52 00FFFFFF
	s_cmp_lt_u32 s82, s66                                      // 000000011E98: BF0A4252
	s_cselect_b32 s20, s36, s60                                // 000000011E9C: 85143C24
	v_readlane_b32 s82, v3, 25                                 // 000000011EA0: D2890052 00013303
	s_and_b32 s82, s82, 0xffffff                               // 000000011EA8: 8652FF52 00FFFFFF
	s_cmp_lt_u32 s82, s66                                      // 000000011EB0: BF0A4252
	s_cselect_b32 s21, s36, s60                                // 000000011EB4: 85153C24
	s_mov_b64 exec, s[20:21]                                   // 000000011EB8: BEFE0114
	global_atomic_add_f32 v6, v136, s[8:9]                     // 000000011EBC: DD348000 00088806
	global_atomic_add_f32 v6, v140, s[8:9] offset:256          // 000000011EC4: DD348100 00088C06
	s_mov_b64 exec, s[36:37]                                   // 000000011ECC: BEFE0124
	v_mov_b32_e32 v6, v79                                      // 000000011ED0: 7E0C034F
	s_mov_b64 s[60:61], 0                                      // 000000011ED4: BEBC0180
	v_readlane_b32 s82, v3, 26                                 // 000000011ED8: D2890052 00013503
	s_and_b32 s82, s82, 0xffffff                               // 000000011EE0: 8652FF52 00FFFFFF
	s_cmp_lt_u32 s82, s66                                      // 000000011EE8: BF0A4252
	s_cselect_b32 s20, s36, s60                                // 000000011EEC: 85143C24
	v_readlane_b32 s82, v3, 27                                 // 000000011EF0: D2890052 00013703
	s_and_b32 s82, s82, 0xffffff                               // 000000011EF8: 8652FF52 00FFFFFF
	s_cmp_lt_u32 s82, s66                                      // 000000011F00: BF0A4252
	s_cselect_b32 s21, s36, s60                                // 000000011F04: 85153C24
	s_mov_b64 exec, s[20:21]                                   // 000000011F08: BEFE0114
	global_atomic_add_f32 v6, v137, s[8:9]                     // 000000011F0C: DD348000 00088906
	global_atomic_add_f32 v6, v141, s[8:9] offset:256          // 000000011F14: DD348100 00088D06
	s_mov_b64 exec, s[36:37]                                   // 000000011F1C: BEFE0124
	v_mov_b32_e32 v6, v80                                      // 000000011F20: 7E0C0350
	s_mov_b64 s[60:61], 0                                      // 000000011F24: BEBC0180
	v_readlane_b32 s82, v3, 28                                 // 000000011F28: D2890052 00013903
	s_and_b32 s82, s82, 0xffffff                               // 000000011F30: 8652FF52 00FFFFFF
	s_cmp_lt_u32 s82, s66                                      // 000000011F38: BF0A4252
	s_cselect_b32 s20, s36, s60                                // 000000011F3C: 85143C24
	v_readlane_b32 s82, v3, 29                                 // 000000011F40: D2890052 00013B03
	s_and_b32 s82, s82, 0xffffff                               // 000000011F48: 8652FF52 00FFFFFF
	s_cmp_lt_u32 s82, s66                                      // 000000011F50: BF0A4252
	s_cselect_b32 s21, s36, s60                                // 000000011F54: 85153C24
	s_mov_b64 exec, s[20:21]                                   // 000000011F58: BEFE0114
	global_atomic_add_f32 v6, v144, s[8:9]                     // 000000011F5C: DD348000 00089006
	global_atomic_add_f32 v6, v148, s[8:9] offset:256          // 000000011F64: DD348100 00089406
	s_mov_b64 exec, s[36:37]                                   // 000000011F6C: BEFE0124
	v_mov_b32_e32 v6, v81                                      // 000000011F70: 7E0C0351
	s_mov_b64 s[60:61], 0                                      // 000000011F74: BEBC0180
	v_readlane_b32 s82, v3, 30                                 // 000000011F78: D2890052 00013D03
	s_and_b32 s82, s82, 0xffffff                               // 000000011F80: 8652FF52 00FFFFFF
	s_cmp_lt_u32 s82, s66                                      // 000000011F88: BF0A4252
	s_cselect_b32 s20, s36, s60                                // 000000011F8C: 85143C24
	v_readlane_b32 s82, v3, 31                                 // 000000011F90: D2890052 00013F03
	s_and_b32 s82, s82, 0xffffff                               // 000000011F98: 8652FF52 00FFFFFF
	s_cmp_lt_u32 s82, s66                                      // 000000011FA0: BF0A4252
	s_cselect_b32 s21, s36, s60                                // 000000011FA4: 85153C24
	s_mov_b64 exec, s[20:21]                                   // 000000011FA8: BEFE0114
	global_atomic_add_f32 v6, v145, s[8:9]                     // 000000011FAC: DD348000 00089106
	global_atomic_add_f32 v6, v149, s[8:9] offset:256          // 000000011FB4: DD348100 00089506
	s_mov_b64 exec, s[36:37]                                   // 000000011FBC: BEFE0124
	v_mov_b32_e32 v6, v82                                      // 000000011FC0: 7E0C0352
	s_mov_b64 s[60:61], 0                                      // 000000011FC4: BEBC0180
	v_readlane_b32 s82, v3, 32                                 // 000000011FC8: D2890052 00014103
	s_and_b32 s82, s82, 0xffffff                               // 000000011FD0: 8652FF52 00FFFFFF
	s_cmp_lt_u32 s82, s66                                      // 000000011FD8: BF0A4252
	s_cselect_b32 s20, s36, s60                                // 000000011FDC: 85143C24
	v_readlane_b32 s82, v3, 33                                 // 000000011FE0: D2890052 00014303
	s_and_b32 s82, s82, 0xffffff                               // 000000011FE8: 8652FF52 00FFFFFF
	s_cmp_lt_u32 s82, s66                                      // 000000011FF0: BF0A4252
	s_cselect_b32 s21, s36, s60                                // 000000011FF4: 85153C24
	s_mov_b64 exec, s[20:21]                                   // 000000011FF8: BEFE0114
	global_atomic_add_f32 v6, v152, s[8:9]                     // 000000011FFC: DD348000 00089806
	global_atomic_add_f32 v6, v156, s[8:9] offset:256          // 000000012004: DD348100 00089C06
	s_mov_b64 exec, s[36:37]                                   // 00000001200C: BEFE0124
	v_mov_b32_e32 v6, v83                                      // 000000012010: 7E0C0353
	s_mov_b64 s[60:61], 0                                      // 000000012014: BEBC0180
	v_readlane_b32 s82, v3, 34                                 // 000000012018: D2890052 00014503
	s_and_b32 s82, s82, 0xffffff                               // 000000012020: 8652FF52 00FFFFFF
	s_cmp_lt_u32 s82, s66                                      // 000000012028: BF0A4252
	s_cselect_b32 s20, s36, s60                                // 00000001202C: 85143C24
	v_readlane_b32 s82, v3, 35                                 // 000000012030: D2890052 00014703
	s_and_b32 s82, s82, 0xffffff                               // 000000012038: 8652FF52 00FFFFFF
	s_cmp_lt_u32 s82, s66                                      // 000000012040: BF0A4252
	s_cselect_b32 s21, s36, s60                                // 000000012044: 85153C24
	s_mov_b64 exec, s[20:21]                                   // 000000012048: BEFE0114
	global_atomic_add_f32 v6, v153, s[8:9]                     // 00000001204C: DD348000 00089906
	global_atomic_add_f32 v6, v157, s[8:9] offset:256          // 000000012054: DD348100 00089D06
	s_mov_b64 exec, s[36:37]                                   // 00000001205C: BEFE0124
	ds_write_b64 v20, v[90:91]                                 // 000000012060: D89A0000 00005A14
	ds_write_b64 v20, v[94:95] offset:4352                     // 000000012068: D89A1100 00005E14
	ds_write_b64 v20, v[98:99] offset:8704                     // 000000012070: D89A2200 00006214
	ds_write_b64 v20, v[102:103] offset:13056                  // 000000012078: D89A3300 00006614
	ds_write_b64 v20, v[106:107] offset:17408                  // 000000012080: D89A4400 00006A14
	ds_write_b64 v20, v[110:111] offset:21760                  // 000000012088: D89A5500 00006E14
	ds_write_b64 v20, v[114:115] offset:26112                  // 000000012090: D89A6600 00007214
	ds_write_b64 v20, v[118:119] offset:30464                  // 000000012098: D89A7700 00007614
	ds_write_b64 v20, v[122:123] offset:34816                  // 0000000120A0: D89A8800 00007A14
	ds_write_b64 v20, v[126:127] offset:2176                   // 0000000120A8: D89A0880 00007E14
	ds_write_b64 v20, v[130:131] offset:6528                   // 0000000120B0: D89A1980 00008214
	ds_write_b64 v20, v[134:135] offset:10880                  // 0000000120B8: D89A2A80 00008614
	ds_write_b64 v20, v[138:139] offset:15232                  // 0000000120C0: D89A3B80 00008A14
	ds_write_b64 v20, v[142:143] offset:19584                  // 0000000120C8: D89A4C80 00008E14
	ds_write_b64 v20, v[146:147] offset:23936                  // 0000000120D0: D89A5D80 00009214
	ds_write_b64 v20, v[150:151] offset:28288                  // 0000000120D8: D89A6E80 00009614
	ds_write_b64 v20, v[154:155] offset:32640                  // 0000000120E0: D89A7F80 00009A14
	ds_write_b64 v20, v[158:159] offset:36992                  // 0000000120E8: D89A9080 00009E14
	s_waitcnt lgkmcnt(0)                                       // 0000000120F0: BF8CC07F
	s_barrier                                                  // 0000000120F4: BF8A0000
	ds_read_b32 v90, v21                                       // 0000000120F8: D86C0000 5A000015
	ds_read_b32 v91, v21 offset:64                             // 000000012100: D86C0040 5B000015
	ds_read_b32 v94, v21 offset:2176                           // 000000012108: D86C0880 5E000015
	ds_read_b32 v95, v21 offset:2240                           // 000000012110: D86C08C0 5F000015
	ds_read_b32 v98, v21 offset:4352                           // 000000012118: D86C1100 62000015
	ds_read_b32 v99, v21 offset:4416                           // 000000012120: D86C1140 63000015
	ds_read_b32 v102, v21 offset:6528                          // 000000012128: D86C1980 66000015
	ds_read_b32 v103, v21 offset:6592                          // 000000012130: D86C19C0 67000015
	ds_read_b32 v106, v21 offset:8704                          // 000000012138: D86C2200 6A000015
	ds_read_b32 v107, v21 offset:8768                          // 000000012140: D86C2240 6B000015
	ds_read_b32 v110, v21 offset:10880                         // 000000012148: D86C2A80 6E000015
	ds_read_b32 v111, v21 offset:10944                         // 000000012150: D86C2AC0 6F000015
	ds_read_b32 v114, v21 offset:13056                         // 000000012158: D86C3300 72000015
	ds_read_b32 v115, v21 offset:13120                         // 000000012160: D86C3340 73000015
	ds_read_b32 v118, v21 offset:15232                         // 000000012168: D86C3B80 76000015
	ds_read_b32 v119, v21 offset:15296                         // 000000012170: D86C3BC0 77000015
	ds_read_b32 v122, v21 offset:17408                         // 000000012178: D86C4400 7A000015
	ds_read_b32 v123, v21 offset:17472                         // 000000012180: D86C4440 7B000015
	ds_read_b32 v126, v21 offset:19584                         // 000000012188: D86C4C80 7E000015
	ds_read_b32 v127, v21 offset:19648                         // 000000012190: D86C4CC0 7F000015
	ds_read_b32 v130, v21 offset:21760                         // 000000012198: D86C5500 82000015
	ds_read_b32 v131, v21 offset:21824                         // 0000000121A0: D86C5540 83000015
	ds_read_b32 v134, v21 offset:23936                         // 0000000121A8: D86C5D80 86000015
	ds_read_b32 v135, v21 offset:24000                         // 0000000121B0: D86C5DC0 87000015
	ds_read_b32 v138, v21 offset:26112                         // 0000000121B8: D86C6600 8A000015
	ds_read_b32 v139, v21 offset:26176                         // 0000000121C0: D86C6640 8B000015
	ds_read_b32 v142, v21 offset:28288                         // 0000000121C8: D86C6E80 8E000015
	ds_read_b32 v143, v21 offset:28352                         // 0000000121D0: D86C6EC0 8F000015
	ds_read_b32 v146, v21 offset:30464                         // 0000000121D8: D86C7700 92000015
	ds_read_b32 v147, v21 offset:30528                         // 0000000121E0: D86C7740 93000015
	ds_read_b32 v150, v21 offset:32640                         // 0000000121E8: D86C7F80 96000015
	ds_read_b32 v151, v21 offset:32704                         // 0000000121F0: D86C7FC0 97000015
	ds_read_b32 v154, v21 offset:34816                         // 0000000121F8: D86C8800 9A000015
	ds_read_b32 v155, v21 offset:34880                         // 000000012200: D86C8840 9B000015
	ds_read_b32 v158, v21 offset:36992                         // 000000012208: D86C9080 9E000015
	ds_read_b32 v159, v21 offset:37056                         // 000000012210: D86C90C0 9F000015
	s_waitcnt lgkmcnt(0)                                       // 000000012218: BF8CC07F
	v_mov_b32_e32 v7, 0                                        // 00000001221C: 7E0E0280
	s_mov_b64 exec, s[36:37]                                   // 000000012220: BEFE0124
	v_mov_b32_e32 v6, v66                                      // 000000012224: 7E0C0342
	s_mov_b64 s[60:61], 0                                      // 000000012228: BEBC0180
	v_readlane_b32 s82, v3, 0                                  // 00000001222C: D2890052 00010103
	s_and_b32 s82, s82, 0xffffff                               // 000000012234: 8652FF52 00FFFFFF
	s_cmp_lt_u32 s82, s66                                      // 00000001223C: BF0A4252
	s_cselect_b32 s20, s36, s60                                // 000000012240: 85143C24
	v_readlane_b32 s82, v3, 1                                  // 000000012244: D2890052 00010303
	s_and_b32 s82, s82, 0xffffff                               // 00000001224C: 8652FF52 00FFFFFF
	s_cmp_lt_u32 s82, s66                                      // 000000012254: BF0A4252
	s_cselect_b32 s21, s36, s60                                // 000000012258: 85153C24
	s_mov_b64 exec, s[20:21]                                   // 00000001225C: BEFE0114
	global_atomic_add_f32 v6, v90, s[8:9] offset:8             // 000000012260: DD348008 00085A06
	global_atomic_add_f32 v6, v94, s[8:9] offset:264           // 000000012268: DD348108 00085E06
	s_mov_b64 exec, s[36:37]                                   // 000000012270: BEFE0124
	v_mov_b32_e32 v6, v67                                      // 000000012274: 7E0C0343
	s_mov_b64 s[60:61], 0                                      // 000000012278: BEBC0180
	v_readlane_b32 s82, v3, 2                                  // 00000001227C: D2890052 00010503
	s_and_b32 s82, s82, 0xffffff                               // 000000012284: 8652FF52 00FFFFFF
	s_cmp_lt_u32 s82, s66                                      // 00000001228C: BF0A4252
	s_cselect_b32 s20, s36, s60                                // 000000012290: 85143C24
	v_readlane_b32 s82, v3, 3                                  // 000000012294: D2890052 00010703
	s_and_b32 s82, s82, 0xffffff                               // 00000001229C: 8652FF52 00FFFFFF
	s_cmp_lt_u32 s82, s66                                      // 0000000122A4: BF0A4252
	s_cselect_b32 s21, s36, s60                                // 0000000122A8: 85153C24
	s_mov_b64 exec, s[20:21]                                   // 0000000122AC: BEFE0114
	global_atomic_add_f32 v6, v91, s[8:9] offset:8             // 0000000122B0: DD348008 00085B06
	global_atomic_add_f32 v6, v95, s[8:9] offset:264           // 0000000122B8: DD348108 00085F06
	s_mov_b64 exec, s[36:37]                                   // 0000000122C0: BEFE0124
	v_mov_b32_e32 v6, v68                                      // 0000000122C4: 7E0C0344
	s_mov_b64 s[60:61], 0                                      // 0000000122C8: BEBC0180
	v_readlane_b32 s82, v3, 4                                  // 0000000122CC: D2890052 00010903
	s_and_b32 s82, s82, 0xffffff                               // 0000000122D4: 8652FF52 00FFFFFF
	s_cmp_lt_u32 s82, s66                                      // 0000000122DC: BF0A4252
	s_cselect_b32 s20, s36, s60                                // 0000000122E0: 85143C24
	v_readlane_b32 s82, v3, 5                                  // 0000000122E4: D2890052 00010B03
	s_and_b32 s82, s82, 0xffffff                               // 0000000122EC: 8652FF52 00FFFFFF
	s_cmp_lt_u32 s82, s66                                      // 0000000122F4: BF0A4252
	s_cselect_b32 s21, s36, s60                                // 0000000122F8: 85153C24
	s_mov_b64 exec, s[20:21]                                   // 0000000122FC: BEFE0114
	global_atomic_add_f32 v6, v98, s[8:9] offset:8             // 000000012300: DD348008 00086206
	global_atomic_add_f32 v6, v102, s[8:9] offset:264          // 000000012308: DD348108 00086606
	s_mov_b64 exec, s[36:37]                                   // 000000012310: BEFE0124
	v_mov_b32_e32 v6, v69                                      // 000000012314: 7E0C0345
	s_mov_b64 s[60:61], 0                                      // 000000012318: BEBC0180
	v_readlane_b32 s82, v3, 6                                  // 00000001231C: D2890052 00010D03
	s_and_b32 s82, s82, 0xffffff                               // 000000012324: 8652FF52 00FFFFFF
	s_cmp_lt_u32 s82, s66                                      // 00000001232C: BF0A4252
	s_cselect_b32 s20, s36, s60                                // 000000012330: 85143C24
	v_readlane_b32 s82, v3, 7                                  // 000000012334: D2890052 00010F03
	s_and_b32 s82, s82, 0xffffff                               // 00000001233C: 8652FF52 00FFFFFF
	s_cmp_lt_u32 s82, s66                                      // 000000012344: BF0A4252
	s_cselect_b32 s21, s36, s60                                // 000000012348: 85153C24
	s_mov_b64 exec, s[20:21]                                   // 00000001234C: BEFE0114
	global_atomic_add_f32 v6, v99, s[8:9] offset:8             // 000000012350: DD348008 00086306
	global_atomic_add_f32 v6, v103, s[8:9] offset:264          // 000000012358: DD348108 00086706
	s_mov_b64 exec, s[36:37]                                   // 000000012360: BEFE0124
	v_mov_b32_e32 v6, v70                                      // 000000012364: 7E0C0346
	s_mov_b64 s[60:61], 0                                      // 000000012368: BEBC0180
	v_readlane_b32 s82, v3, 8                                  // 00000001236C: D2890052 00011103
	s_and_b32 s82, s82, 0xffffff                               // 000000012374: 8652FF52 00FFFFFF
	s_cmp_lt_u32 s82, s66                                      // 00000001237C: BF0A4252
	s_cselect_b32 s20, s36, s60                                // 000000012380: 85143C24
	v_readlane_b32 s82, v3, 9                                  // 000000012384: D2890052 00011303
	s_and_b32 s82, s82, 0xffffff                               // 00000001238C: 8652FF52 00FFFFFF
	s_cmp_lt_u32 s82, s66                                      // 000000012394: BF0A4252
	s_cselect_b32 s21, s36, s60                                // 000000012398: 85153C24
	s_mov_b64 exec, s[20:21]                                   // 00000001239C: BEFE0114
	global_atomic_add_f32 v6, v106, s[8:9] offset:8            // 0000000123A0: DD348008 00086A06
	global_atomic_add_f32 v6, v110, s[8:9] offset:264          // 0000000123A8: DD348108 00086E06
	s_mov_b64 exec, s[36:37]                                   // 0000000123B0: BEFE0124
	v_mov_b32_e32 v6, v71                                      // 0000000123B4: 7E0C0347
	s_mov_b64 s[60:61], 0                                      // 0000000123B8: BEBC0180
	v_readlane_b32 s82, v3, 10                                 // 0000000123BC: D2890052 00011503
	s_and_b32 s82, s82, 0xffffff                               // 0000000123C4: 8652FF52 00FFFFFF
	s_cmp_lt_u32 s82, s66                                      // 0000000123CC: BF0A4252
	s_cselect_b32 s20, s36, s60                                // 0000000123D0: 85143C24
	v_readlane_b32 s82, v3, 11                                 // 0000000123D4: D2890052 00011703
	s_and_b32 s82, s82, 0xffffff                               // 0000000123DC: 8652FF52 00FFFFFF
	s_cmp_lt_u32 s82, s66                                      // 0000000123E4: BF0A4252
	s_cselect_b32 s21, s36, s60                                // 0000000123E8: 85153C24
	s_mov_b64 exec, s[20:21]                                   // 0000000123EC: BEFE0114
	global_atomic_add_f32 v6, v107, s[8:9] offset:8            // 0000000123F0: DD348008 00086B06
	global_atomic_add_f32 v6, v111, s[8:9] offset:264          // 0000000123F8: DD348108 00086F06
	s_mov_b64 exec, s[36:37]                                   // 000000012400: BEFE0124
	v_mov_b32_e32 v6, v72                                      // 000000012404: 7E0C0348
	s_mov_b64 s[60:61], 0                                      // 000000012408: BEBC0180
	v_readlane_b32 s82, v3, 12                                 // 00000001240C: D2890052 00011903
	s_and_b32 s82, s82, 0xffffff                               // 000000012414: 8652FF52 00FFFFFF
	s_cmp_lt_u32 s82, s66                                      // 00000001241C: BF0A4252
	s_cselect_b32 s20, s36, s60                                // 000000012420: 85143C24
	v_readlane_b32 s82, v3, 13                                 // 000000012424: D2890052 00011B03
	s_and_b32 s82, s82, 0xffffff                               // 00000001242C: 8652FF52 00FFFFFF
	s_cmp_lt_u32 s82, s66                                      // 000000012434: BF0A4252
	s_cselect_b32 s21, s36, s60                                // 000000012438: 85153C24
	s_mov_b64 exec, s[20:21]                                   // 00000001243C: BEFE0114
	global_atomic_add_f32 v6, v114, s[8:9] offset:8            // 000000012440: DD348008 00087206
	global_atomic_add_f32 v6, v118, s[8:9] offset:264          // 000000012448: DD348108 00087606
	s_mov_b64 exec, s[36:37]                                   // 000000012450: BEFE0124
	v_mov_b32_e32 v6, v73                                      // 000000012454: 7E0C0349
	s_mov_b64 s[60:61], 0                                      // 000000012458: BEBC0180
	v_readlane_b32 s82, v3, 14                                 // 00000001245C: D2890052 00011D03
	s_and_b32 s82, s82, 0xffffff                               // 000000012464: 8652FF52 00FFFFFF
	s_cmp_lt_u32 s82, s66                                      // 00000001246C: BF0A4252
	s_cselect_b32 s20, s36, s60                                // 000000012470: 85143C24
	v_readlane_b32 s82, v3, 15                                 // 000000012474: D2890052 00011F03
	s_and_b32 s82, s82, 0xffffff                               // 00000001247C: 8652FF52 00FFFFFF
	s_cmp_lt_u32 s82, s66                                      // 000000012484: BF0A4252
	s_cselect_b32 s21, s36, s60                                // 000000012488: 85153C24
	s_mov_b64 exec, s[20:21]                                   // 00000001248C: BEFE0114
	global_atomic_add_f32 v6, v115, s[8:9] offset:8            // 000000012490: DD348008 00087306
	global_atomic_add_f32 v6, v119, s[8:9] offset:264          // 000000012498: DD348108 00087706
	s_mov_b64 exec, s[36:37]                                   // 0000000124A0: BEFE0124
	v_mov_b32_e32 v6, v74                                      // 0000000124A4: 7E0C034A
	s_mov_b64 s[60:61], 0                                      // 0000000124A8: BEBC0180
	v_readlane_b32 s82, v3, 16                                 // 0000000124AC: D2890052 00012103
	s_and_b32 s82, s82, 0xffffff                               // 0000000124B4: 8652FF52 00FFFFFF
	s_cmp_lt_u32 s82, s66                                      // 0000000124BC: BF0A4252
	s_cselect_b32 s20, s36, s60                                // 0000000124C0: 85143C24
	v_readlane_b32 s82, v3, 17                                 // 0000000124C4: D2890052 00012303
	s_and_b32 s82, s82, 0xffffff                               // 0000000124CC: 8652FF52 00FFFFFF
	s_cmp_lt_u32 s82, s66                                      // 0000000124D4: BF0A4252
	s_cselect_b32 s21, s36, s60                                // 0000000124D8: 85153C24
	s_mov_b64 exec, s[20:21]                                   // 0000000124DC: BEFE0114
	global_atomic_add_f32 v6, v122, s[8:9] offset:8            // 0000000124E0: DD348008 00087A06
	global_atomic_add_f32 v6, v126, s[8:9] offset:264          // 0000000124E8: DD348108 00087E06
	s_mov_b64 exec, s[36:37]                                   // 0000000124F0: BEFE0124
	v_mov_b32_e32 v6, v75                                      // 0000000124F4: 7E0C034B
	s_mov_b64 s[60:61], 0                                      // 0000000124F8: BEBC0180
	v_readlane_b32 s82, v3, 18                                 // 0000000124FC: D2890052 00012503
	s_and_b32 s82, s82, 0xffffff                               // 000000012504: 8652FF52 00FFFFFF
	s_cmp_lt_u32 s82, s66                                      // 00000001250C: BF0A4252
	s_cselect_b32 s20, s36, s60                                // 000000012510: 85143C24
	v_readlane_b32 s82, v3, 19                                 // 000000012514: D2890052 00012703
	s_and_b32 s82, s82, 0xffffff                               // 00000001251C: 8652FF52 00FFFFFF
	s_cmp_lt_u32 s82, s66                                      // 000000012524: BF0A4252
	s_cselect_b32 s21, s36, s60                                // 000000012528: 85153C24
	s_mov_b64 exec, s[20:21]                                   // 00000001252C: BEFE0114
	global_atomic_add_f32 v6, v123, s[8:9] offset:8            // 000000012530: DD348008 00087B06
	global_atomic_add_f32 v6, v127, s[8:9] offset:264          // 000000012538: DD348108 00087F06
	s_mov_b64 exec, s[36:37]                                   // 000000012540: BEFE0124
	v_mov_b32_e32 v6, v76                                      // 000000012544: 7E0C034C
	s_mov_b64 s[60:61], 0                                      // 000000012548: BEBC0180
	v_readlane_b32 s82, v3, 20                                 // 00000001254C: D2890052 00012903
	s_and_b32 s82, s82, 0xffffff                               // 000000012554: 8652FF52 00FFFFFF
	s_cmp_lt_u32 s82, s66                                      // 00000001255C: BF0A4252
	s_cselect_b32 s20, s36, s60                                // 000000012560: 85143C24
	v_readlane_b32 s82, v3, 21                                 // 000000012564: D2890052 00012B03
	s_and_b32 s82, s82, 0xffffff                               // 00000001256C: 8652FF52 00FFFFFF
	s_cmp_lt_u32 s82, s66                                      // 000000012574: BF0A4252
	s_cselect_b32 s21, s36, s60                                // 000000012578: 85153C24
	s_mov_b64 exec, s[20:21]                                   // 00000001257C: BEFE0114
	global_atomic_add_f32 v6, v130, s[8:9] offset:8            // 000000012580: DD348008 00088206
	global_atomic_add_f32 v6, v134, s[8:9] offset:264          // 000000012588: DD348108 00088606
	s_mov_b64 exec, s[36:37]                                   // 000000012590: BEFE0124
	v_mov_b32_e32 v6, v77                                      // 000000012594: 7E0C034D
	s_mov_b64 s[60:61], 0                                      // 000000012598: BEBC0180
	v_readlane_b32 s82, v3, 22                                 // 00000001259C: D2890052 00012D03
	s_and_b32 s82, s82, 0xffffff                               // 0000000125A4: 8652FF52 00FFFFFF
	s_cmp_lt_u32 s82, s66                                      // 0000000125AC: BF0A4252
	s_cselect_b32 s20, s36, s60                                // 0000000125B0: 85143C24
	v_readlane_b32 s82, v3, 23                                 // 0000000125B4: D2890052 00012F03
	s_and_b32 s82, s82, 0xffffff                               // 0000000125BC: 8652FF52 00FFFFFF
	s_cmp_lt_u32 s82, s66                                      // 0000000125C4: BF0A4252
	s_cselect_b32 s21, s36, s60                                // 0000000125C8: 85153C24
	s_mov_b64 exec, s[20:21]                                   // 0000000125CC: BEFE0114
	global_atomic_add_f32 v6, v131, s[8:9] offset:8            // 0000000125D0: DD348008 00088306
	global_atomic_add_f32 v6, v135, s[8:9] offset:264          // 0000000125D8: DD348108 00088706
	s_mov_b64 exec, s[36:37]                                   // 0000000125E0: BEFE0124
	v_mov_b32_e32 v6, v78                                      // 0000000125E4: 7E0C034E
	s_mov_b64 s[60:61], 0                                      // 0000000125E8: BEBC0180
	v_readlane_b32 s82, v3, 24                                 // 0000000125EC: D2890052 00013103
	s_and_b32 s82, s82, 0xffffff                               // 0000000125F4: 8652FF52 00FFFFFF
	s_cmp_lt_u32 s82, s66                                      // 0000000125FC: BF0A4252
	s_cselect_b32 s20, s36, s60                                // 000000012600: 85143C24
	v_readlane_b32 s82, v3, 25                                 // 000000012604: D2890052 00013303
	s_and_b32 s82, s82, 0xffffff                               // 00000001260C: 8652FF52 00FFFFFF
	s_cmp_lt_u32 s82, s66                                      // 000000012614: BF0A4252
	s_cselect_b32 s21, s36, s60                                // 000000012618: 85153C24
	s_mov_b64 exec, s[20:21]                                   // 00000001261C: BEFE0114
	global_atomic_add_f32 v6, v138, s[8:9] offset:8            // 000000012620: DD348008 00088A06
	global_atomic_add_f32 v6, v142, s[8:9] offset:264          // 000000012628: DD348108 00088E06
	s_mov_b64 exec, s[36:37]                                   // 000000012630: BEFE0124
	v_mov_b32_e32 v6, v79                                      // 000000012634: 7E0C034F
	s_mov_b64 s[60:61], 0                                      // 000000012638: BEBC0180
	v_readlane_b32 s82, v3, 26                                 // 00000001263C: D2890052 00013503
	s_and_b32 s82, s82, 0xffffff                               // 000000012644: 8652FF52 00FFFFFF
	s_cmp_lt_u32 s82, s66                                      // 00000001264C: BF0A4252
	s_cselect_b32 s20, s36, s60                                // 000000012650: 85143C24
	v_readlane_b32 s82, v3, 27                                 // 000000012654: D2890052 00013703
	s_and_b32 s82, s82, 0xffffff                               // 00000001265C: 8652FF52 00FFFFFF
	s_cmp_lt_u32 s82, s66                                      // 000000012664: BF0A4252
	s_cselect_b32 s21, s36, s60                                // 000000012668: 85153C24
	s_mov_b64 exec, s[20:21]                                   // 00000001266C: BEFE0114
	global_atomic_add_f32 v6, v139, s[8:9] offset:8            // 000000012670: DD348008 00088B06
	global_atomic_add_f32 v6, v143, s[8:9] offset:264          // 000000012678: DD348108 00088F06
	s_mov_b64 exec, s[36:37]                                   // 000000012680: BEFE0124
	v_mov_b32_e32 v6, v80                                      // 000000012684: 7E0C0350
	s_mov_b64 s[60:61], 0                                      // 000000012688: BEBC0180
	v_readlane_b32 s82, v3, 28                                 // 00000001268C: D2890052 00013903
	s_and_b32 s82, s82, 0xffffff                               // 000000012694: 8652FF52 00FFFFFF
	s_cmp_lt_u32 s82, s66                                      // 00000001269C: BF0A4252
	s_cselect_b32 s20, s36, s60                                // 0000000126A0: 85143C24
	v_readlane_b32 s82, v3, 29                                 // 0000000126A4: D2890052 00013B03
	s_and_b32 s82, s82, 0xffffff                               // 0000000126AC: 8652FF52 00FFFFFF
	s_cmp_lt_u32 s82, s66                                      // 0000000126B4: BF0A4252
	s_cselect_b32 s21, s36, s60                                // 0000000126B8: 85153C24
	s_mov_b64 exec, s[20:21]                                   // 0000000126BC: BEFE0114
	global_atomic_add_f32 v6, v146, s[8:9] offset:8            // 0000000126C0: DD348008 00089206
	global_atomic_add_f32 v6, v150, s[8:9] offset:264          // 0000000126C8: DD348108 00089606
	s_mov_b64 exec, s[36:37]                                   // 0000000126D0: BEFE0124
	v_mov_b32_e32 v6, v81                                      // 0000000126D4: 7E0C0351
	s_mov_b64 s[60:61], 0                                      // 0000000126D8: BEBC0180
	v_readlane_b32 s82, v3, 30                                 // 0000000126DC: D2890052 00013D03
	s_and_b32 s82, s82, 0xffffff                               // 0000000126E4: 8652FF52 00FFFFFF
	s_cmp_lt_u32 s82, s66                                      // 0000000126EC: BF0A4252
	s_cselect_b32 s20, s36, s60                                // 0000000126F0: 85143C24
	v_readlane_b32 s82, v3, 31                                 // 0000000126F4: D2890052 00013F03
	s_and_b32 s82, s82, 0xffffff                               // 0000000126FC: 8652FF52 00FFFFFF
	s_cmp_lt_u32 s82, s66                                      // 000000012704: BF0A4252
	s_cselect_b32 s21, s36, s60                                // 000000012708: 85153C24
	s_mov_b64 exec, s[20:21]                                   // 00000001270C: BEFE0114
	global_atomic_add_f32 v6, v147, s[8:9] offset:8            // 000000012710: DD348008 00089306
	global_atomic_add_f32 v6, v151, s[8:9] offset:264          // 000000012718: DD348108 00089706
	s_mov_b64 exec, s[36:37]                                   // 000000012720: BEFE0124
	v_mov_b32_e32 v6, v82                                      // 000000012724: 7E0C0352
	s_mov_b64 s[60:61], 0                                      // 000000012728: BEBC0180
	v_readlane_b32 s82, v3, 32                                 // 00000001272C: D2890052 00014103
	s_and_b32 s82, s82, 0xffffff                               // 000000012734: 8652FF52 00FFFFFF
	s_cmp_lt_u32 s82, s66                                      // 00000001273C: BF0A4252
	s_cselect_b32 s20, s36, s60                                // 000000012740: 85143C24
	v_readlane_b32 s82, v3, 33                                 // 000000012744: D2890052 00014303
	s_and_b32 s82, s82, 0xffffff                               // 00000001274C: 8652FF52 00FFFFFF
	s_cmp_lt_u32 s82, s66                                      // 000000012754: BF0A4252
	s_cselect_b32 s21, s36, s60                                // 000000012758: 85153C24
	s_mov_b64 exec, s[20:21]                                   // 00000001275C: BEFE0114
	global_atomic_add_f32 v6, v154, s[8:9] offset:8            // 000000012760: DD348008 00089A06
	global_atomic_add_f32 v6, v158, s[8:9] offset:264          // 000000012768: DD348108 00089E06
	s_mov_b64 exec, s[36:37]                                   // 000000012770: BEFE0124
	v_mov_b32_e32 v6, v83                                      // 000000012774: 7E0C0353
	s_mov_b64 s[60:61], 0                                      // 000000012778: BEBC0180
	v_readlane_b32 s82, v3, 34                                 // 00000001277C: D2890052 00014503
	s_and_b32 s82, s82, 0xffffff                               // 000000012784: 8652FF52 00FFFFFF
	s_cmp_lt_u32 s82, s66                                      // 00000001278C: BF0A4252
	s_cselect_b32 s20, s36, s60                                // 000000012790: 85143C24
	v_readlane_b32 s82, v3, 35                                 // 000000012794: D2890052 00014703
	s_and_b32 s82, s82, 0xffffff                               // 00000001279C: 8652FF52 00FFFFFF
	s_cmp_lt_u32 s82, s66                                      // 0000000127A4: BF0A4252
	s_cselect_b32 s21, s36, s60                                // 0000000127A8: 85153C24
	s_mov_b64 exec, s[20:21]                                   // 0000000127AC: BEFE0114
	global_atomic_add_f32 v6, v155, s[8:9] offset:8            // 0000000127B0: DD348008 00089B06
	global_atomic_add_f32 v6, v159, s[8:9] offset:264          // 0000000127B8: DD348108 00089F06
	s_mov_b64 exec, s[36:37]                                   // 0000000127C0: BEFE0124
	ds_write_b64 v20, v[160:161]                               // 0000000127C4: D89A0000 0000A014
	ds_write_b64 v20, v[164:165] offset:4352                   // 0000000127CC: D89A1100 0000A414
	ds_write_b64 v20, v[168:169] offset:8704                   // 0000000127D4: D89A2200 0000A814
	ds_write_b64 v20, v[172:173] offset:13056                  // 0000000127DC: D89A3300 0000AC14
	ds_write_b64 v20, v[176:177] offset:17408                  // 0000000127E4: D89A4400 0000B014
	ds_write_b64 v20, v[180:181] offset:21760                  // 0000000127EC: D89A5500 0000B414
	ds_write_b64 v20, v[184:185] offset:26112                  // 0000000127F4: D89A6600 0000B814
	ds_write_b64 v20, v[188:189] offset:30464                  // 0000000127FC: D89A7700 0000BC14
	ds_write_b64 v20, v[192:193] offset:34816                  // 000000012804: D89A8800 0000C014
	ds_write_b64 v20, v[196:197] offset:2176                   // 00000001280C: D89A0880 0000C414
	ds_write_b64 v20, v[200:201] offset:6528                   // 000000012814: D89A1980 0000C814
	ds_write_b64 v20, v[204:205] offset:10880                  // 00000001281C: D89A2A80 0000CC14
	ds_write_b64 v20, v[208:209] offset:15232                  // 000000012824: D89A3B80 0000D014
	ds_write_b64 v20, v[212:213] offset:19584                  // 00000001282C: D89A4C80 0000D414
	ds_write_b64 v20, v[216:217] offset:23936                  // 000000012834: D89A5D80 0000D814
	ds_write_b64 v20, v[220:221] offset:28288                  // 00000001283C: D89A6E80 0000DC14
	ds_write_b64 v20, v[224:225] offset:32640                  // 000000012844: D89A7F80 0000E014
	ds_write_b64 v20, v[228:229] offset:36992                  // 00000001284C: D89A9080 0000E414
	s_waitcnt lgkmcnt(0)                                       // 000000012854: BF8CC07F
	s_barrier                                                  // 000000012858: BF8A0000
	ds_read_b32 v160, v21                                      // 00000001285C: D86C0000 A0000015
	ds_read_b32 v161, v21 offset:64                            // 000000012864: D86C0040 A1000015
	ds_read_b32 v164, v21 offset:2176                          // 00000001286C: D86C0880 A4000015
	ds_read_b32 v165, v21 offset:2240                          // 000000012874: D86C08C0 A5000015
	ds_read_b32 v168, v21 offset:4352                          // 00000001287C: D86C1100 A8000015
	ds_read_b32 v169, v21 offset:4416                          // 000000012884: D86C1140 A9000015
	ds_read_b32 v172, v21 offset:6528                          // 00000001288C: D86C1980 AC000015
	ds_read_b32 v173, v21 offset:6592                          // 000000012894: D86C19C0 AD000015
	ds_read_b32 v176, v21 offset:8704                          // 00000001289C: D86C2200 B0000015
	ds_read_b32 v177, v21 offset:8768                          // 0000000128A4: D86C2240 B1000015
	ds_read_b32 v180, v21 offset:10880                         // 0000000128AC: D86C2A80 B4000015
	ds_read_b32 v181, v21 offset:10944                         // 0000000128B4: D86C2AC0 B5000015
	ds_read_b32 v184, v21 offset:13056                         // 0000000128BC: D86C3300 B8000015
	ds_read_b32 v185, v21 offset:13120                         // 0000000128C4: D86C3340 B9000015
	ds_read_b32 v188, v21 offset:15232                         // 0000000128CC: D86C3B80 BC000015
	ds_read_b32 v189, v21 offset:15296                         // 0000000128D4: D86C3BC0 BD000015
	ds_read_b32 v192, v21 offset:17408                         // 0000000128DC: D86C4400 C0000015
	ds_read_b32 v193, v21 offset:17472                         // 0000000128E4: D86C4440 C1000015
	ds_read_b32 v196, v21 offset:19584                         // 0000000128EC: D86C4C80 C4000015
	ds_read_b32 v197, v21 offset:19648                         // 0000000128F4: D86C4CC0 C5000015
	ds_read_b32 v200, v21 offset:21760                         // 0000000128FC: D86C5500 C8000015
	ds_read_b32 v201, v21 offset:21824                         // 000000012904: D86C5540 C9000015
	ds_read_b32 v204, v21 offset:23936                         // 00000001290C: D86C5D80 CC000015
	ds_read_b32 v205, v21 offset:24000                         // 000000012914: D86C5DC0 CD000015
	ds_read_b32 v208, v21 offset:26112                         // 00000001291C: D86C6600 D0000015
	ds_read_b32 v209, v21 offset:26176                         // 000000012924: D86C6640 D1000015
	ds_read_b32 v212, v21 offset:28288                         // 00000001292C: D86C6E80 D4000015
	ds_read_b32 v213, v21 offset:28352                         // 000000012934: D86C6EC0 D5000015
	ds_read_b32 v216, v21 offset:30464                         // 00000001293C: D86C7700 D8000015
	ds_read_b32 v217, v21 offset:30528                         // 000000012944: D86C7740 D9000015
	ds_read_b32 v220, v21 offset:32640                         // 00000001294C: D86C7F80 DC000015
	ds_read_b32 v221, v21 offset:32704                         // 000000012954: D86C7FC0 DD000015
	ds_read_b32 v224, v21 offset:34816                         // 00000001295C: D86C8800 E0000015
	ds_read_b32 v225, v21 offset:34880                         // 000000012964: D86C8840 E1000015
	ds_read_b32 v228, v21 offset:36992                         // 00000001296C: D86C9080 E4000015
	ds_read_b32 v229, v21 offset:37056                         // 000000012974: D86C90C0 E5000015
	s_mul_i32 s60, s65, 4                                      // 00000001297C: 923C8441
	s_add_u32 s8, s60, s8                                      // 000000012980: 8008083C
	s_addc_u32 s9, 0, s9                                       // 000000012984: 82090980
	s_waitcnt lgkmcnt(0)                                       // 000000012988: BF8CC07F
	v_mov_b32_e32 v7, 0                                        // 00000001298C: 7E0E0280
	s_mov_b64 exec, s[36:37]                                   // 000000012990: BEFE0124
	v_mov_b32_e32 v6, v66                                      // 000000012994: 7E0C0342
	s_mov_b64 s[60:61], 0                                      // 000000012998: BEBC0180
	v_readlane_b32 s82, v3, 0                                  // 00000001299C: D2890052 00010103
	s_and_b32 s82, s82, 0xffffff                               // 0000000129A4: 8652FF52 00FFFFFF
	s_cmp_lt_u32 s82, s66                                      // 0000000129AC: BF0A4252
	s_cselect_b32 s20, s36, s60                                // 0000000129B0: 85143C24
	v_readlane_b32 s82, v3, 1                                  // 0000000129B4: D2890052 00010303
	s_and_b32 s82, s82, 0xffffff                               // 0000000129BC: 8652FF52 00FFFFFF
	s_cmp_lt_u32 s82, s66                                      // 0000000129C4: BF0A4252
	s_cselect_b32 s21, s36, s60                                // 0000000129C8: 85153C24
	s_mov_b64 exec, s[20:21]                                   // 0000000129CC: BEFE0114
	global_atomic_add_f32 v6, v160, s[8:9]                     // 0000000129D0: DD348000 0008A006
	global_atomic_add_f32 v6, v164, s[8:9] offset:256          // 0000000129D8: DD348100 0008A406
	s_mov_b64 exec, s[36:37]                                   // 0000000129E0: BEFE0124
	v_mov_b32_e32 v6, v67                                      // 0000000129E4: 7E0C0343
	s_mov_b64 s[60:61], 0                                      // 0000000129E8: BEBC0180
	v_readlane_b32 s82, v3, 2                                  // 0000000129EC: D2890052 00010503
	s_and_b32 s82, s82, 0xffffff                               // 0000000129F4: 8652FF52 00FFFFFF
	s_cmp_lt_u32 s82, s66                                      // 0000000129FC: BF0A4252
	s_cselect_b32 s20, s36, s60                                // 000000012A00: 85143C24
	v_readlane_b32 s82, v3, 3                                  // 000000012A04: D2890052 00010703
	s_and_b32 s82, s82, 0xffffff                               // 000000012A0C: 8652FF52 00FFFFFF
	s_cmp_lt_u32 s82, s66                                      // 000000012A14: BF0A4252
	s_cselect_b32 s21, s36, s60                                // 000000012A18: 85153C24
	s_mov_b64 exec, s[20:21]                                   // 000000012A1C: BEFE0114
	global_atomic_add_f32 v6, v161, s[8:9]                     // 000000012A20: DD348000 0008A106
	global_atomic_add_f32 v6, v165, s[8:9] offset:256          // 000000012A28: DD348100 0008A506
	s_mov_b64 exec, s[36:37]                                   // 000000012A30: BEFE0124
	v_mov_b32_e32 v6, v68                                      // 000000012A34: 7E0C0344
	s_mov_b64 s[60:61], 0                                      // 000000012A38: BEBC0180
	v_readlane_b32 s82, v3, 4                                  // 000000012A3C: D2890052 00010903
	s_and_b32 s82, s82, 0xffffff                               // 000000012A44: 8652FF52 00FFFFFF
	s_cmp_lt_u32 s82, s66                                      // 000000012A4C: BF0A4252
	s_cselect_b32 s20, s36, s60                                // 000000012A50: 85143C24
	v_readlane_b32 s82, v3, 5                                  // 000000012A54: D2890052 00010B03
	s_and_b32 s82, s82, 0xffffff                               // 000000012A5C: 8652FF52 00FFFFFF
	s_cmp_lt_u32 s82, s66                                      // 000000012A64: BF0A4252
	s_cselect_b32 s21, s36, s60                                // 000000012A68: 85153C24
	s_mov_b64 exec, s[20:21]                                   // 000000012A6C: BEFE0114
	global_atomic_add_f32 v6, v168, s[8:9]                     // 000000012A70: DD348000 0008A806
	global_atomic_add_f32 v6, v172, s[8:9] offset:256          // 000000012A78: DD348100 0008AC06
	s_mov_b64 exec, s[36:37]                                   // 000000012A80: BEFE0124
	v_mov_b32_e32 v6, v69                                      // 000000012A84: 7E0C0345
	s_mov_b64 s[60:61], 0                                      // 000000012A88: BEBC0180
	v_readlane_b32 s82, v3, 6                                  // 000000012A8C: D2890052 00010D03
	s_and_b32 s82, s82, 0xffffff                               // 000000012A94: 8652FF52 00FFFFFF
	s_cmp_lt_u32 s82, s66                                      // 000000012A9C: BF0A4252
	s_cselect_b32 s20, s36, s60                                // 000000012AA0: 85143C24
	v_readlane_b32 s82, v3, 7                                  // 000000012AA4: D2890052 00010F03
	s_and_b32 s82, s82, 0xffffff                               // 000000012AAC: 8652FF52 00FFFFFF
	s_cmp_lt_u32 s82, s66                                      // 000000012AB4: BF0A4252
	s_cselect_b32 s21, s36, s60                                // 000000012AB8: 85153C24
	s_mov_b64 exec, s[20:21]                                   // 000000012ABC: BEFE0114
	global_atomic_add_f32 v6, v169, s[8:9]                     // 000000012AC0: DD348000 0008A906
	global_atomic_add_f32 v6, v173, s[8:9] offset:256          // 000000012AC8: DD348100 0008AD06
	s_mov_b64 exec, s[36:37]                                   // 000000012AD0: BEFE0124
	v_mov_b32_e32 v6, v70                                      // 000000012AD4: 7E0C0346
	s_mov_b64 s[60:61], 0                                      // 000000012AD8: BEBC0180
	v_readlane_b32 s82, v3, 8                                  // 000000012ADC: D2890052 00011103
	s_and_b32 s82, s82, 0xffffff                               // 000000012AE4: 8652FF52 00FFFFFF
	s_cmp_lt_u32 s82, s66                                      // 000000012AEC: BF0A4252
	s_cselect_b32 s20, s36, s60                                // 000000012AF0: 85143C24
	v_readlane_b32 s82, v3, 9                                  // 000000012AF4: D2890052 00011303
	s_and_b32 s82, s82, 0xffffff                               // 000000012AFC: 8652FF52 00FFFFFF
	s_cmp_lt_u32 s82, s66                                      // 000000012B04: BF0A4252
	s_cselect_b32 s21, s36, s60                                // 000000012B08: 85153C24
	s_mov_b64 exec, s[20:21]                                   // 000000012B0C: BEFE0114
	global_atomic_add_f32 v6, v176, s[8:9]                     // 000000012B10: DD348000 0008B006
	global_atomic_add_f32 v6, v180, s[8:9] offset:256          // 000000012B18: DD348100 0008B406
	s_mov_b64 exec, s[36:37]                                   // 000000012B20: BEFE0124
	v_mov_b32_e32 v6, v71                                      // 000000012B24: 7E0C0347
	s_mov_b64 s[60:61], 0                                      // 000000012B28: BEBC0180
	v_readlane_b32 s82, v3, 10                                 // 000000012B2C: D2890052 00011503
	s_and_b32 s82, s82, 0xffffff                               // 000000012B34: 8652FF52 00FFFFFF
	s_cmp_lt_u32 s82, s66                                      // 000000012B3C: BF0A4252
	s_cselect_b32 s20, s36, s60                                // 000000012B40: 85143C24
	v_readlane_b32 s82, v3, 11                                 // 000000012B44: D2890052 00011703
	s_and_b32 s82, s82, 0xffffff                               // 000000012B4C: 8652FF52 00FFFFFF
	s_cmp_lt_u32 s82, s66                                      // 000000012B54: BF0A4252
	s_cselect_b32 s21, s36, s60                                // 000000012B58: 85153C24
	s_mov_b64 exec, s[20:21]                                   // 000000012B5C: BEFE0114
	global_atomic_add_f32 v6, v177, s[8:9]                     // 000000012B60: DD348000 0008B106
	global_atomic_add_f32 v6, v181, s[8:9] offset:256          // 000000012B68: DD348100 0008B506
	s_mov_b64 exec, s[36:37]                                   // 000000012B70: BEFE0124
	v_mov_b32_e32 v6, v72                                      // 000000012B74: 7E0C0348
	s_mov_b64 s[60:61], 0                                      // 000000012B78: BEBC0180
	v_readlane_b32 s82, v3, 12                                 // 000000012B7C: D2890052 00011903
	s_and_b32 s82, s82, 0xffffff                               // 000000012B84: 8652FF52 00FFFFFF
	s_cmp_lt_u32 s82, s66                                      // 000000012B8C: BF0A4252
	s_cselect_b32 s20, s36, s60                                // 000000012B90: 85143C24
	v_readlane_b32 s82, v3, 13                                 // 000000012B94: D2890052 00011B03
	s_and_b32 s82, s82, 0xffffff                               // 000000012B9C: 8652FF52 00FFFFFF
	s_cmp_lt_u32 s82, s66                                      // 000000012BA4: BF0A4252
	s_cselect_b32 s21, s36, s60                                // 000000012BA8: 85153C24
	s_mov_b64 exec, s[20:21]                                   // 000000012BAC: BEFE0114
	global_atomic_add_f32 v6, v184, s[8:9]                     // 000000012BB0: DD348000 0008B806
	global_atomic_add_f32 v6, v188, s[8:9] offset:256          // 000000012BB8: DD348100 0008BC06
	s_mov_b64 exec, s[36:37]                                   // 000000012BC0: BEFE0124
	v_mov_b32_e32 v6, v73                                      // 000000012BC4: 7E0C0349
	s_mov_b64 s[60:61], 0                                      // 000000012BC8: BEBC0180
	v_readlane_b32 s82, v3, 14                                 // 000000012BCC: D2890052 00011D03
	s_and_b32 s82, s82, 0xffffff                               // 000000012BD4: 8652FF52 00FFFFFF
	s_cmp_lt_u32 s82, s66                                      // 000000012BDC: BF0A4252
	s_cselect_b32 s20, s36, s60                                // 000000012BE0: 85143C24
	v_readlane_b32 s82, v3, 15                                 // 000000012BE4: D2890052 00011F03
	s_and_b32 s82, s82, 0xffffff                               // 000000012BEC: 8652FF52 00FFFFFF
	s_cmp_lt_u32 s82, s66                                      // 000000012BF4: BF0A4252
	s_cselect_b32 s21, s36, s60                                // 000000012BF8: 85153C24
	s_mov_b64 exec, s[20:21]                                   // 000000012BFC: BEFE0114
	global_atomic_add_f32 v6, v185, s[8:9]                     // 000000012C00: DD348000 0008B906
	global_atomic_add_f32 v6, v189, s[8:9] offset:256          // 000000012C08: DD348100 0008BD06
	s_mov_b64 exec, s[36:37]                                   // 000000012C10: BEFE0124
	v_mov_b32_e32 v6, v74                                      // 000000012C14: 7E0C034A
	s_mov_b64 s[60:61], 0                                      // 000000012C18: BEBC0180
	v_readlane_b32 s82, v3, 16                                 // 000000012C1C: D2890052 00012103
	s_and_b32 s82, s82, 0xffffff                               // 000000012C24: 8652FF52 00FFFFFF
	s_cmp_lt_u32 s82, s66                                      // 000000012C2C: BF0A4252
	s_cselect_b32 s20, s36, s60                                // 000000012C30: 85143C24
	v_readlane_b32 s82, v3, 17                                 // 000000012C34: D2890052 00012303
	s_and_b32 s82, s82, 0xffffff                               // 000000012C3C: 8652FF52 00FFFFFF
	s_cmp_lt_u32 s82, s66                                      // 000000012C44: BF0A4252
	s_cselect_b32 s21, s36, s60                                // 000000012C48: 85153C24
	s_mov_b64 exec, s[20:21]                                   // 000000012C4C: BEFE0114
	global_atomic_add_f32 v6, v192, s[8:9]                     // 000000012C50: DD348000 0008C006
	global_atomic_add_f32 v6, v196, s[8:9] offset:256          // 000000012C58: DD348100 0008C406
	s_mov_b64 exec, s[36:37]                                   // 000000012C60: BEFE0124
	v_mov_b32_e32 v6, v75                                      // 000000012C64: 7E0C034B
	s_mov_b64 s[60:61], 0                                      // 000000012C68: BEBC0180
	v_readlane_b32 s82, v3, 18                                 // 000000012C6C: D2890052 00012503
	s_and_b32 s82, s82, 0xffffff                               // 000000012C74: 8652FF52 00FFFFFF
	s_cmp_lt_u32 s82, s66                                      // 000000012C7C: BF0A4252
	s_cselect_b32 s20, s36, s60                                // 000000012C80: 85143C24
	v_readlane_b32 s82, v3, 19                                 // 000000012C84: D2890052 00012703
	s_and_b32 s82, s82, 0xffffff                               // 000000012C8C: 8652FF52 00FFFFFF
	s_cmp_lt_u32 s82, s66                                      // 000000012C94: BF0A4252
	s_cselect_b32 s21, s36, s60                                // 000000012C98: 85153C24
	s_mov_b64 exec, s[20:21]                                   // 000000012C9C: BEFE0114
	global_atomic_add_f32 v6, v193, s[8:9]                     // 000000012CA0: DD348000 0008C106
	global_atomic_add_f32 v6, v197, s[8:9] offset:256          // 000000012CA8: DD348100 0008C506
	s_mov_b64 exec, s[36:37]                                   // 000000012CB0: BEFE0124
	v_mov_b32_e32 v6, v76                                      // 000000012CB4: 7E0C034C
	s_mov_b64 s[60:61], 0                                      // 000000012CB8: BEBC0180
	v_readlane_b32 s82, v3, 20                                 // 000000012CBC: D2890052 00012903
	s_and_b32 s82, s82, 0xffffff                               // 000000012CC4: 8652FF52 00FFFFFF
	s_cmp_lt_u32 s82, s66                                      // 000000012CCC: BF0A4252
	s_cselect_b32 s20, s36, s60                                // 000000012CD0: 85143C24
	v_readlane_b32 s82, v3, 21                                 // 000000012CD4: D2890052 00012B03
	s_and_b32 s82, s82, 0xffffff                               // 000000012CDC: 8652FF52 00FFFFFF
	s_cmp_lt_u32 s82, s66                                      // 000000012CE4: BF0A4252
	s_cselect_b32 s21, s36, s60                                // 000000012CE8: 85153C24
	s_mov_b64 exec, s[20:21]                                   // 000000012CEC: BEFE0114
	global_atomic_add_f32 v6, v200, s[8:9]                     // 000000012CF0: DD348000 0008C806
	global_atomic_add_f32 v6, v204, s[8:9] offset:256          // 000000012CF8: DD348100 0008CC06
	s_mov_b64 exec, s[36:37]                                   // 000000012D00: BEFE0124
	v_mov_b32_e32 v6, v77                                      // 000000012D04: 7E0C034D
	s_mov_b64 s[60:61], 0                                      // 000000012D08: BEBC0180
	v_readlane_b32 s82, v3, 22                                 // 000000012D0C: D2890052 00012D03
	s_and_b32 s82, s82, 0xffffff                               // 000000012D14: 8652FF52 00FFFFFF
	s_cmp_lt_u32 s82, s66                                      // 000000012D1C: BF0A4252
	s_cselect_b32 s20, s36, s60                                // 000000012D20: 85143C24
	v_readlane_b32 s82, v3, 23                                 // 000000012D24: D2890052 00012F03
	s_and_b32 s82, s82, 0xffffff                               // 000000012D2C: 8652FF52 00FFFFFF
	s_cmp_lt_u32 s82, s66                                      // 000000012D34: BF0A4252
	s_cselect_b32 s21, s36, s60                                // 000000012D38: 85153C24
	s_mov_b64 exec, s[20:21]                                   // 000000012D3C: BEFE0114
	global_atomic_add_f32 v6, v201, s[8:9]                     // 000000012D40: DD348000 0008C906
	global_atomic_add_f32 v6, v205, s[8:9] offset:256          // 000000012D48: DD348100 0008CD06
	s_mov_b64 exec, s[36:37]                                   // 000000012D50: BEFE0124
	v_mov_b32_e32 v6, v78                                      // 000000012D54: 7E0C034E
	s_mov_b64 s[60:61], 0                                      // 000000012D58: BEBC0180
	v_readlane_b32 s82, v3, 24                                 // 000000012D5C: D2890052 00013103
	s_and_b32 s82, s82, 0xffffff                               // 000000012D64: 8652FF52 00FFFFFF
	s_cmp_lt_u32 s82, s66                                      // 000000012D6C: BF0A4252
	s_cselect_b32 s20, s36, s60                                // 000000012D70: 85143C24
	v_readlane_b32 s82, v3, 25                                 // 000000012D74: D2890052 00013303
	s_and_b32 s82, s82, 0xffffff                               // 000000012D7C: 8652FF52 00FFFFFF
	s_cmp_lt_u32 s82, s66                                      // 000000012D84: BF0A4252
	s_cselect_b32 s21, s36, s60                                // 000000012D88: 85153C24
	s_mov_b64 exec, s[20:21]                                   // 000000012D8C: BEFE0114
	global_atomic_add_f32 v6, v208, s[8:9]                     // 000000012D90: DD348000 0008D006
	global_atomic_add_f32 v6, v212, s[8:9] offset:256          // 000000012D98: DD348100 0008D406
	s_mov_b64 exec, s[36:37]                                   // 000000012DA0: BEFE0124
	v_mov_b32_e32 v6, v79                                      // 000000012DA4: 7E0C034F
	s_mov_b64 s[60:61], 0                                      // 000000012DA8: BEBC0180
	v_readlane_b32 s82, v3, 26                                 // 000000012DAC: D2890052 00013503
	s_and_b32 s82, s82, 0xffffff                               // 000000012DB4: 8652FF52 00FFFFFF
	s_cmp_lt_u32 s82, s66                                      // 000000012DBC: BF0A4252
	s_cselect_b32 s20, s36, s60                                // 000000012DC0: 85143C24
	v_readlane_b32 s82, v3, 27                                 // 000000012DC4: D2890052 00013703
	s_and_b32 s82, s82, 0xffffff                               // 000000012DCC: 8652FF52 00FFFFFF
	s_cmp_lt_u32 s82, s66                                      // 000000012DD4: BF0A4252
	s_cselect_b32 s21, s36, s60                                // 000000012DD8: 85153C24
	s_mov_b64 exec, s[20:21]                                   // 000000012DDC: BEFE0114
	global_atomic_add_f32 v6, v209, s[8:9]                     // 000000012DE0: DD348000 0008D106
	global_atomic_add_f32 v6, v213, s[8:9] offset:256          // 000000012DE8: DD348100 0008D506
	s_mov_b64 exec, s[36:37]                                   // 000000012DF0: BEFE0124
	v_mov_b32_e32 v6, v80                                      // 000000012DF4: 7E0C0350
	s_mov_b64 s[60:61], 0                                      // 000000012DF8: BEBC0180
	v_readlane_b32 s82, v3, 28                                 // 000000012DFC: D2890052 00013903
	s_and_b32 s82, s82, 0xffffff                               // 000000012E04: 8652FF52 00FFFFFF
	s_cmp_lt_u32 s82, s66                                      // 000000012E0C: BF0A4252
	s_cselect_b32 s20, s36, s60                                // 000000012E10: 85143C24
	v_readlane_b32 s82, v3, 29                                 // 000000012E14: D2890052 00013B03
	s_and_b32 s82, s82, 0xffffff                               // 000000012E1C: 8652FF52 00FFFFFF
	s_cmp_lt_u32 s82, s66                                      // 000000012E24: BF0A4252
	s_cselect_b32 s21, s36, s60                                // 000000012E28: 85153C24
	s_mov_b64 exec, s[20:21]                                   // 000000012E2C: BEFE0114
	global_atomic_add_f32 v6, v216, s[8:9]                     // 000000012E30: DD348000 0008D806
	global_atomic_add_f32 v6, v220, s[8:9] offset:256          // 000000012E38: DD348100 0008DC06
	s_mov_b64 exec, s[36:37]                                   // 000000012E40: BEFE0124
	v_mov_b32_e32 v6, v81                                      // 000000012E44: 7E0C0351
	s_mov_b64 s[60:61], 0                                      // 000000012E48: BEBC0180
	v_readlane_b32 s82, v3, 30                                 // 000000012E4C: D2890052 00013D03
	s_and_b32 s82, s82, 0xffffff                               // 000000012E54: 8652FF52 00FFFFFF
	s_cmp_lt_u32 s82, s66                                      // 000000012E5C: BF0A4252
	s_cselect_b32 s20, s36, s60                                // 000000012E60: 85143C24
	v_readlane_b32 s82, v3, 31                                 // 000000012E64: D2890052 00013F03
	s_and_b32 s82, s82, 0xffffff                               // 000000012E6C: 8652FF52 00FFFFFF
	s_cmp_lt_u32 s82, s66                                      // 000000012E74: BF0A4252
	s_cselect_b32 s21, s36, s60                                // 000000012E78: 85153C24
	s_mov_b64 exec, s[20:21]                                   // 000000012E7C: BEFE0114
	global_atomic_add_f32 v6, v217, s[8:9]                     // 000000012E80: DD348000 0008D906
	global_atomic_add_f32 v6, v221, s[8:9] offset:256          // 000000012E88: DD348100 0008DD06
	s_mov_b64 exec, s[36:37]                                   // 000000012E90: BEFE0124
	v_mov_b32_e32 v6, v82                                      // 000000012E94: 7E0C0352
	s_mov_b64 s[60:61], 0                                      // 000000012E98: BEBC0180
	v_readlane_b32 s82, v3, 32                                 // 000000012E9C: D2890052 00014103
	s_and_b32 s82, s82, 0xffffff                               // 000000012EA4: 8652FF52 00FFFFFF
	s_cmp_lt_u32 s82, s66                                      // 000000012EAC: BF0A4252
	s_cselect_b32 s20, s36, s60                                // 000000012EB0: 85143C24
	v_readlane_b32 s82, v3, 33                                 // 000000012EB4: D2890052 00014303
	s_and_b32 s82, s82, 0xffffff                               // 000000012EBC: 8652FF52 00FFFFFF
	s_cmp_lt_u32 s82, s66                                      // 000000012EC4: BF0A4252
	s_cselect_b32 s21, s36, s60                                // 000000012EC8: 85153C24
	s_mov_b64 exec, s[20:21]                                   // 000000012ECC: BEFE0114
	global_atomic_add_f32 v6, v224, s[8:9]                     // 000000012ED0: DD348000 0008E006
	global_atomic_add_f32 v6, v228, s[8:9] offset:256          // 000000012ED8: DD348100 0008E406
	s_mov_b64 exec, s[36:37]                                   // 000000012EE0: BEFE0124
	v_mov_b32_e32 v6, v83                                      // 000000012EE4: 7E0C0353
	s_mov_b64 s[60:61], 0                                      // 000000012EE8: BEBC0180
	v_readlane_b32 s82, v3, 34                                 // 000000012EEC: D2890052 00014503
	s_and_b32 s82, s82, 0xffffff                               // 000000012EF4: 8652FF52 00FFFFFF
	s_cmp_lt_u32 s82, s66                                      // 000000012EFC: BF0A4252
	s_cselect_b32 s20, s36, s60                                // 000000012F00: 85143C24
	v_readlane_b32 s82, v3, 35                                 // 000000012F04: D2890052 00014703
	s_and_b32 s82, s82, 0xffffff                               // 000000012F0C: 8652FF52 00FFFFFF
	s_cmp_lt_u32 s82, s66                                      // 000000012F14: BF0A4252
	s_cselect_b32 s21, s36, s60                                // 000000012F18: 85153C24
	s_mov_b64 exec, s[20:21]                                   // 000000012F1C: BEFE0114
	global_atomic_add_f32 v6, v225, s[8:9]                     // 000000012F20: DD348000 0008E106
	global_atomic_add_f32 v6, v229, s[8:9] offset:256          // 000000012F28: DD348100 0008E506
	s_mov_b64 exec, s[36:37]                                   // 000000012F30: BEFE0124
	ds_write_b64 v20, v[162:163]                               // 000000012F34: D89A0000 0000A214
	ds_write_b64 v20, v[166:167] offset:4352                   // 000000012F3C: D89A1100 0000A614
	ds_write_b64 v20, v[170:171] offset:8704                   // 000000012F44: D89A2200 0000AA14
	ds_write_b64 v20, v[174:175] offset:13056                  // 000000012F4C: D89A3300 0000AE14
	ds_write_b64 v20, v[178:179] offset:17408                  // 000000012F54: D89A4400 0000B214
	ds_write_b64 v20, v[182:183] offset:21760                  // 000000012F5C: D89A5500 0000B614
	ds_write_b64 v20, v[186:187] offset:26112                  // 000000012F64: D89A6600 0000BA14
	ds_write_b64 v20, v[190:191] offset:30464                  // 000000012F6C: D89A7700 0000BE14
	ds_write_b64 v20, v[194:195] offset:34816                  // 000000012F74: D89A8800 0000C214
	ds_write_b64 v20, v[198:199] offset:2176                   // 000000012F7C: D89A0880 0000C614
	ds_write_b64 v20, v[202:203] offset:6528                   // 000000012F84: D89A1980 0000CA14
	ds_write_b64 v20, v[206:207] offset:10880                  // 000000012F8C: D89A2A80 0000CE14
	ds_write_b64 v20, v[210:211] offset:15232                  // 000000012F94: D89A3B80 0000D214
	ds_write_b64 v20, v[214:215] offset:19584                  // 000000012F9C: D89A4C80 0000D614
	ds_write_b64 v20, v[218:219] offset:23936                  // 000000012FA4: D89A5D80 0000DA14
	ds_write_b64 v20, v[222:223] offset:28288                  // 000000012FAC: D89A6E80 0000DE14
	ds_write_b64 v20, v[226:227] offset:32640                  // 000000012FB4: D89A7F80 0000E214
	ds_write_b64 v20, v[230:231] offset:36992                  // 000000012FBC: D89A9080 0000E614
	s_waitcnt lgkmcnt(0)                                       // 000000012FC4: BF8CC07F
	s_barrier                                                  // 000000012FC8: BF8A0000
	ds_read_b32 v162, v21                                      // 000000012FCC: D86C0000 A2000015
	ds_read_b32 v163, v21 offset:64                            // 000000012FD4: D86C0040 A3000015
	ds_read_b32 v166, v21 offset:2176                          // 000000012FDC: D86C0880 A6000015
	ds_read_b32 v167, v21 offset:2240                          // 000000012FE4: D86C08C0 A7000015
	ds_read_b32 v170, v21 offset:4352                          // 000000012FEC: D86C1100 AA000015
	ds_read_b32 v171, v21 offset:4416                          // 000000012FF4: D86C1140 AB000015
	ds_read_b32 v174, v21 offset:6528                          // 000000012FFC: D86C1980 AE000015
	ds_read_b32 v175, v21 offset:6592                          // 000000013004: D86C19C0 AF000015
	ds_read_b32 v178, v21 offset:8704                          // 00000001300C: D86C2200 B2000015
	ds_read_b32 v179, v21 offset:8768                          // 000000013014: D86C2240 B3000015
	ds_read_b32 v182, v21 offset:10880                         // 00000001301C: D86C2A80 B6000015
	ds_read_b32 v183, v21 offset:10944                         // 000000013024: D86C2AC0 B7000015
	ds_read_b32 v186, v21 offset:13056                         // 00000001302C: D86C3300 BA000015
	ds_read_b32 v187, v21 offset:13120                         // 000000013034: D86C3340 BB000015
	ds_read_b32 v190, v21 offset:15232                         // 00000001303C: D86C3B80 BE000015
	ds_read_b32 v191, v21 offset:15296                         // 000000013044: D86C3BC0 BF000015
	ds_read_b32 v194, v21 offset:17408                         // 00000001304C: D86C4400 C2000015
	ds_read_b32 v195, v21 offset:17472                         // 000000013054: D86C4440 C3000015
	ds_read_b32 v198, v21 offset:19584                         // 00000001305C: D86C4C80 C6000015
	ds_read_b32 v199, v21 offset:19648                         // 000000013064: D86C4CC0 C7000015
	ds_read_b32 v202, v21 offset:21760                         // 00000001306C: D86C5500 CA000015
	ds_read_b32 v203, v21 offset:21824                         // 000000013074: D86C5540 CB000015
	ds_read_b32 v206, v21 offset:23936                         // 00000001307C: D86C5D80 CE000015
	ds_read_b32 v207, v21 offset:24000                         // 000000013084: D86C5DC0 CF000015
	ds_read_b32 v210, v21 offset:26112                         // 00000001308C: D86C6600 D2000015
	ds_read_b32 v211, v21 offset:26176                         // 000000013094: D86C6640 D3000015
	ds_read_b32 v214, v21 offset:28288                         // 00000001309C: D86C6E80 D6000015
	ds_read_b32 v215, v21 offset:28352                         // 0000000130A4: D86C6EC0 D7000015
	ds_read_b32 v218, v21 offset:30464                         // 0000000130AC: D86C7700 DA000015
	ds_read_b32 v219, v21 offset:30528                         // 0000000130B4: D86C7740 DB000015
	ds_read_b32 v222, v21 offset:32640                         // 0000000130BC: D86C7F80 DE000015
	ds_read_b32 v223, v21 offset:32704                         // 0000000130C4: D86C7FC0 DF000015
	ds_read_b32 v226, v21 offset:34816                         // 0000000130CC: D86C8800 E2000015
	ds_read_b32 v227, v21 offset:34880                         // 0000000130D4: D86C8840 E3000015
	ds_read_b32 v230, v21 offset:36992                         // 0000000130DC: D86C9080 E6000015
	ds_read_b32 v231, v21 offset:37056                         // 0000000130E4: D86C90C0 E7000015
	s_waitcnt lgkmcnt(0)                                       // 0000000130EC: BF8CC07F
	v_mov_b32_e32 v7, 0                                        // 0000000130F0: 7E0E0280
	s_mov_b64 exec, s[36:37]                                   // 0000000130F4: BEFE0124
	v_mov_b32_e32 v6, v66                                      // 0000000130F8: 7E0C0342
	s_mov_b64 s[60:61], 0                                      // 0000000130FC: BEBC0180
	v_readlane_b32 s82, v3, 0                                  // 000000013100: D2890052 00010103
	s_and_b32 s82, s82, 0xffffff                               // 000000013108: 8652FF52 00FFFFFF
	s_cmp_lt_u32 s82, s66                                      // 000000013110: BF0A4252
	s_cselect_b32 s20, s36, s60                                // 000000013114: 85143C24
	v_readlane_b32 s82, v3, 1                                  // 000000013118: D2890052 00010303
	s_and_b32 s82, s82, 0xffffff                               // 000000013120: 8652FF52 00FFFFFF
	s_cmp_lt_u32 s82, s66                                      // 000000013128: BF0A4252
	s_cselect_b32 s21, s36, s60                                // 00000001312C: 85153C24
	s_mov_b64 exec, s[20:21]                                   // 000000013130: BEFE0114
	global_atomic_add_f32 v6, v162, s[8:9] offset:8            // 000000013134: DD348008 0008A206
	global_atomic_add_f32 v6, v166, s[8:9] offset:264          // 00000001313C: DD348108 0008A606
	s_mov_b64 exec, s[36:37]                                   // 000000013144: BEFE0124
	v_mov_b32_e32 v6, v67                                      // 000000013148: 7E0C0343
	s_mov_b64 s[60:61], 0                                      // 00000001314C: BEBC0180
	v_readlane_b32 s82, v3, 2                                  // 000000013150: D2890052 00010503
	s_and_b32 s82, s82, 0xffffff                               // 000000013158: 8652FF52 00FFFFFF
	s_cmp_lt_u32 s82, s66                                      // 000000013160: BF0A4252
	s_cselect_b32 s20, s36, s60                                // 000000013164: 85143C24
	v_readlane_b32 s82, v3, 3                                  // 000000013168: D2890052 00010703
	s_and_b32 s82, s82, 0xffffff                               // 000000013170: 8652FF52 00FFFFFF
	s_cmp_lt_u32 s82, s66                                      // 000000013178: BF0A4252
	s_cselect_b32 s21, s36, s60                                // 00000001317C: 85153C24
	s_mov_b64 exec, s[20:21]                                   // 000000013180: BEFE0114
	global_atomic_add_f32 v6, v163, s[8:9] offset:8            // 000000013184: DD348008 0008A306
	global_atomic_add_f32 v6, v167, s[8:9] offset:264          // 00000001318C: DD348108 0008A706
	s_mov_b64 exec, s[36:37]                                   // 000000013194: BEFE0124
	v_mov_b32_e32 v6, v68                                      // 000000013198: 7E0C0344
	s_mov_b64 s[60:61], 0                                      // 00000001319C: BEBC0180
	v_readlane_b32 s82, v3, 4                                  // 0000000131A0: D2890052 00010903
	s_and_b32 s82, s82, 0xffffff                               // 0000000131A8: 8652FF52 00FFFFFF
	s_cmp_lt_u32 s82, s66                                      // 0000000131B0: BF0A4252
	s_cselect_b32 s20, s36, s60                                // 0000000131B4: 85143C24
	v_readlane_b32 s82, v3, 5                                  // 0000000131B8: D2890052 00010B03
	s_and_b32 s82, s82, 0xffffff                               // 0000000131C0: 8652FF52 00FFFFFF
	s_cmp_lt_u32 s82, s66                                      // 0000000131C8: BF0A4252
	s_cselect_b32 s21, s36, s60                                // 0000000131CC: 85153C24
	s_mov_b64 exec, s[20:21]                                   // 0000000131D0: BEFE0114
	global_atomic_add_f32 v6, v170, s[8:9] offset:8            // 0000000131D4: DD348008 0008AA06
	global_atomic_add_f32 v6, v174, s[8:9] offset:264          // 0000000131DC: DD348108 0008AE06
	s_mov_b64 exec, s[36:37]                                   // 0000000131E4: BEFE0124
	v_mov_b32_e32 v6, v69                                      // 0000000131E8: 7E0C0345
	s_mov_b64 s[60:61], 0                                      // 0000000131EC: BEBC0180
	v_readlane_b32 s82, v3, 6                                  // 0000000131F0: D2890052 00010D03
	s_and_b32 s82, s82, 0xffffff                               // 0000000131F8: 8652FF52 00FFFFFF
	s_cmp_lt_u32 s82, s66                                      // 000000013200: BF0A4252
	s_cselect_b32 s20, s36, s60                                // 000000013204: 85143C24
	v_readlane_b32 s82, v3, 7                                  // 000000013208: D2890052 00010F03
	s_and_b32 s82, s82, 0xffffff                               // 000000013210: 8652FF52 00FFFFFF
	s_cmp_lt_u32 s82, s66                                      // 000000013218: BF0A4252
	s_cselect_b32 s21, s36, s60                                // 00000001321C: 85153C24
	s_mov_b64 exec, s[20:21]                                   // 000000013220: BEFE0114
	global_atomic_add_f32 v6, v171, s[8:9] offset:8            // 000000013224: DD348008 0008AB06
	global_atomic_add_f32 v6, v175, s[8:9] offset:264          // 00000001322C: DD348108 0008AF06
	s_mov_b64 exec, s[36:37]                                   // 000000013234: BEFE0124
	v_mov_b32_e32 v6, v70                                      // 000000013238: 7E0C0346
	s_mov_b64 s[60:61], 0                                      // 00000001323C: BEBC0180
	v_readlane_b32 s82, v3, 8                                  // 000000013240: D2890052 00011103
	s_and_b32 s82, s82, 0xffffff                               // 000000013248: 8652FF52 00FFFFFF
	s_cmp_lt_u32 s82, s66                                      // 000000013250: BF0A4252
	s_cselect_b32 s20, s36, s60                                // 000000013254: 85143C24
	v_readlane_b32 s82, v3, 9                                  // 000000013258: D2890052 00011303
	s_and_b32 s82, s82, 0xffffff                               // 000000013260: 8652FF52 00FFFFFF
	s_cmp_lt_u32 s82, s66                                      // 000000013268: BF0A4252
	s_cselect_b32 s21, s36, s60                                // 00000001326C: 85153C24
	s_mov_b64 exec, s[20:21]                                   // 000000013270: BEFE0114
	global_atomic_add_f32 v6, v178, s[8:9] offset:8            // 000000013274: DD348008 0008B206
	global_atomic_add_f32 v6, v182, s[8:9] offset:264          // 00000001327C: DD348108 0008B606
	s_mov_b64 exec, s[36:37]                                   // 000000013284: BEFE0124
	v_mov_b32_e32 v6, v71                                      // 000000013288: 7E0C0347
	s_mov_b64 s[60:61], 0                                      // 00000001328C: BEBC0180
	v_readlane_b32 s82, v3, 10                                 // 000000013290: D2890052 00011503
	s_and_b32 s82, s82, 0xffffff                               // 000000013298: 8652FF52 00FFFFFF
	s_cmp_lt_u32 s82, s66                                      // 0000000132A0: BF0A4252
	s_cselect_b32 s20, s36, s60                                // 0000000132A4: 85143C24
	v_readlane_b32 s82, v3, 11                                 // 0000000132A8: D2890052 00011703
	s_and_b32 s82, s82, 0xffffff                               // 0000000132B0: 8652FF52 00FFFFFF
	s_cmp_lt_u32 s82, s66                                      // 0000000132B8: BF0A4252
	s_cselect_b32 s21, s36, s60                                // 0000000132BC: 85153C24
	s_mov_b64 exec, s[20:21]                                   // 0000000132C0: BEFE0114
	global_atomic_add_f32 v6, v179, s[8:9] offset:8            // 0000000132C4: DD348008 0008B306
	global_atomic_add_f32 v6, v183, s[8:9] offset:264          // 0000000132CC: DD348108 0008B706
	s_mov_b64 exec, s[36:37]                                   // 0000000132D4: BEFE0124
	v_mov_b32_e32 v6, v72                                      // 0000000132D8: 7E0C0348
	s_mov_b64 s[60:61], 0                                      // 0000000132DC: BEBC0180
	v_readlane_b32 s82, v3, 12                                 // 0000000132E0: D2890052 00011903
	s_and_b32 s82, s82, 0xffffff                               // 0000000132E8: 8652FF52 00FFFFFF
	s_cmp_lt_u32 s82, s66                                      // 0000000132F0: BF0A4252
	s_cselect_b32 s20, s36, s60                                // 0000000132F4: 85143C24
	v_readlane_b32 s82, v3, 13                                 // 0000000132F8: D2890052 00011B03
	s_and_b32 s82, s82, 0xffffff                               // 000000013300: 8652FF52 00FFFFFF
	s_cmp_lt_u32 s82, s66                                      // 000000013308: BF0A4252
	s_cselect_b32 s21, s36, s60                                // 00000001330C: 85153C24
	s_mov_b64 exec, s[20:21]                                   // 000000013310: BEFE0114
	global_atomic_add_f32 v6, v186, s[8:9] offset:8            // 000000013314: DD348008 0008BA06
	global_atomic_add_f32 v6, v190, s[8:9] offset:264          // 00000001331C: DD348108 0008BE06
	s_mov_b64 exec, s[36:37]                                   // 000000013324: BEFE0124
	v_mov_b32_e32 v6, v73                                      // 000000013328: 7E0C0349
	s_mov_b64 s[60:61], 0                                      // 00000001332C: BEBC0180
	v_readlane_b32 s82, v3, 14                                 // 000000013330: D2890052 00011D03
	s_and_b32 s82, s82, 0xffffff                               // 000000013338: 8652FF52 00FFFFFF
	s_cmp_lt_u32 s82, s66                                      // 000000013340: BF0A4252
	s_cselect_b32 s20, s36, s60                                // 000000013344: 85143C24
	v_readlane_b32 s82, v3, 15                                 // 000000013348: D2890052 00011F03
	s_and_b32 s82, s82, 0xffffff                               // 000000013350: 8652FF52 00FFFFFF
	s_cmp_lt_u32 s82, s66                                      // 000000013358: BF0A4252
	s_cselect_b32 s21, s36, s60                                // 00000001335C: 85153C24
	s_mov_b64 exec, s[20:21]                                   // 000000013360: BEFE0114
	global_atomic_add_f32 v6, v187, s[8:9] offset:8            // 000000013364: DD348008 0008BB06
	global_atomic_add_f32 v6, v191, s[8:9] offset:264          // 00000001336C: DD348108 0008BF06
	s_mov_b64 exec, s[36:37]                                   // 000000013374: BEFE0124
	v_mov_b32_e32 v6, v74                                      // 000000013378: 7E0C034A
	s_mov_b64 s[60:61], 0                                      // 00000001337C: BEBC0180
	v_readlane_b32 s82, v3, 16                                 // 000000013380: D2890052 00012103
	s_and_b32 s82, s82, 0xffffff                               // 000000013388: 8652FF52 00FFFFFF
	s_cmp_lt_u32 s82, s66                                      // 000000013390: BF0A4252
	s_cselect_b32 s20, s36, s60                                // 000000013394: 85143C24
	v_readlane_b32 s82, v3, 17                                 // 000000013398: D2890052 00012303
	s_and_b32 s82, s82, 0xffffff                               // 0000000133A0: 8652FF52 00FFFFFF
	s_cmp_lt_u32 s82, s66                                      // 0000000133A8: BF0A4252
	s_cselect_b32 s21, s36, s60                                // 0000000133AC: 85153C24
	s_mov_b64 exec, s[20:21]                                   // 0000000133B0: BEFE0114
	global_atomic_add_f32 v6, v194, s[8:9] offset:8            // 0000000133B4: DD348008 0008C206
	global_atomic_add_f32 v6, v198, s[8:9] offset:264          // 0000000133BC: DD348108 0008C606
	s_mov_b64 exec, s[36:37]                                   // 0000000133C4: BEFE0124
	v_mov_b32_e32 v6, v75                                      // 0000000133C8: 7E0C034B
	s_mov_b64 s[60:61], 0                                      // 0000000133CC: BEBC0180
	v_readlane_b32 s82, v3, 18                                 // 0000000133D0: D2890052 00012503
	s_and_b32 s82, s82, 0xffffff                               // 0000000133D8: 8652FF52 00FFFFFF
	s_cmp_lt_u32 s82, s66                                      // 0000000133E0: BF0A4252
	s_cselect_b32 s20, s36, s60                                // 0000000133E4: 85143C24
	v_readlane_b32 s82, v3, 19                                 // 0000000133E8: D2890052 00012703
	s_and_b32 s82, s82, 0xffffff                               // 0000000133F0: 8652FF52 00FFFFFF
	s_cmp_lt_u32 s82, s66                                      // 0000000133F8: BF0A4252
	s_cselect_b32 s21, s36, s60                                // 0000000133FC: 85153C24
	s_mov_b64 exec, s[20:21]                                   // 000000013400: BEFE0114
	global_atomic_add_f32 v6, v195, s[8:9] offset:8            // 000000013404: DD348008 0008C306
	global_atomic_add_f32 v6, v199, s[8:9] offset:264          // 00000001340C: DD348108 0008C706
	s_mov_b64 exec, s[36:37]                                   // 000000013414: BEFE0124
	v_mov_b32_e32 v6, v76                                      // 000000013418: 7E0C034C
	s_mov_b64 s[60:61], 0                                      // 00000001341C: BEBC0180
	v_readlane_b32 s82, v3, 20                                 // 000000013420: D2890052 00012903
	s_and_b32 s82, s82, 0xffffff                               // 000000013428: 8652FF52 00FFFFFF
	s_cmp_lt_u32 s82, s66                                      // 000000013430: BF0A4252
	s_cselect_b32 s20, s36, s60                                // 000000013434: 85143C24
	v_readlane_b32 s82, v3, 21                                 // 000000013438: D2890052 00012B03
	s_and_b32 s82, s82, 0xffffff                               // 000000013440: 8652FF52 00FFFFFF
	s_cmp_lt_u32 s82, s66                                      // 000000013448: BF0A4252
	s_cselect_b32 s21, s36, s60                                // 00000001344C: 85153C24
	s_mov_b64 exec, s[20:21]                                   // 000000013450: BEFE0114
	global_atomic_add_f32 v6, v202, s[8:9] offset:8            // 000000013454: DD348008 0008CA06
	global_atomic_add_f32 v6, v206, s[8:9] offset:264          // 00000001345C: DD348108 0008CE06
	s_mov_b64 exec, s[36:37]                                   // 000000013464: BEFE0124
	v_mov_b32_e32 v6, v77                                      // 000000013468: 7E0C034D
	s_mov_b64 s[60:61], 0                                      // 00000001346C: BEBC0180
	v_readlane_b32 s82, v3, 22                                 // 000000013470: D2890052 00012D03
	s_and_b32 s82, s82, 0xffffff                               // 000000013478: 8652FF52 00FFFFFF
	s_cmp_lt_u32 s82, s66                                      // 000000013480: BF0A4252
	s_cselect_b32 s20, s36, s60                                // 000000013484: 85143C24
	v_readlane_b32 s82, v3, 23                                 // 000000013488: D2890052 00012F03
	s_and_b32 s82, s82, 0xffffff                               // 000000013490: 8652FF52 00FFFFFF
	s_cmp_lt_u32 s82, s66                                      // 000000013498: BF0A4252
	s_cselect_b32 s21, s36, s60                                // 00000001349C: 85153C24
	s_mov_b64 exec, s[20:21]                                   // 0000000134A0: BEFE0114
	global_atomic_add_f32 v6, v203, s[8:9] offset:8            // 0000000134A4: DD348008 0008CB06
	global_atomic_add_f32 v6, v207, s[8:9] offset:264          // 0000000134AC: DD348108 0008CF06
	s_mov_b64 exec, s[36:37]                                   // 0000000134B4: BEFE0124
	v_mov_b32_e32 v6, v78                                      // 0000000134B8: 7E0C034E
	s_mov_b64 s[60:61], 0                                      // 0000000134BC: BEBC0180
	v_readlane_b32 s82, v3, 24                                 // 0000000134C0: D2890052 00013103
	s_and_b32 s82, s82, 0xffffff                               // 0000000134C8: 8652FF52 00FFFFFF
	s_cmp_lt_u32 s82, s66                                      // 0000000134D0: BF0A4252
	s_cselect_b32 s20, s36, s60                                // 0000000134D4: 85143C24
	v_readlane_b32 s82, v3, 25                                 // 0000000134D8: D2890052 00013303
	s_and_b32 s82, s82, 0xffffff                               // 0000000134E0: 8652FF52 00FFFFFF
	s_cmp_lt_u32 s82, s66                                      // 0000000134E8: BF0A4252
	s_cselect_b32 s21, s36, s60                                // 0000000134EC: 85153C24
	s_mov_b64 exec, s[20:21]                                   // 0000000134F0: BEFE0114
	global_atomic_add_f32 v6, v210, s[8:9] offset:8            // 0000000134F4: DD348008 0008D206
	global_atomic_add_f32 v6, v214, s[8:9] offset:264          // 0000000134FC: DD348108 0008D606
	s_mov_b64 exec, s[36:37]                                   // 000000013504: BEFE0124
	v_mov_b32_e32 v6, v79                                      // 000000013508: 7E0C034F
	s_mov_b64 s[60:61], 0                                      // 00000001350C: BEBC0180
	v_readlane_b32 s82, v3, 26                                 // 000000013510: D2890052 00013503
	s_and_b32 s82, s82, 0xffffff                               // 000000013518: 8652FF52 00FFFFFF
	s_cmp_lt_u32 s82, s66                                      // 000000013520: BF0A4252
	s_cselect_b32 s20, s36, s60                                // 000000013524: 85143C24
	v_readlane_b32 s82, v3, 27                                 // 000000013528: D2890052 00013703
	s_and_b32 s82, s82, 0xffffff                               // 000000013530: 8652FF52 00FFFFFF
	s_cmp_lt_u32 s82, s66                                      // 000000013538: BF0A4252
	s_cselect_b32 s21, s36, s60                                // 00000001353C: 85153C24
	s_mov_b64 exec, s[20:21]                                   // 000000013540: BEFE0114
	global_atomic_add_f32 v6, v211, s[8:9] offset:8            // 000000013544: DD348008 0008D306
	global_atomic_add_f32 v6, v215, s[8:9] offset:264          // 00000001354C: DD348108 0008D706
	s_mov_b64 exec, s[36:37]                                   // 000000013554: BEFE0124
	v_mov_b32_e32 v6, v80                                      // 000000013558: 7E0C0350
	s_mov_b64 s[60:61], 0                                      // 00000001355C: BEBC0180
	v_readlane_b32 s82, v3, 28                                 // 000000013560: D2890052 00013903
	s_and_b32 s82, s82, 0xffffff                               // 000000013568: 8652FF52 00FFFFFF
	s_cmp_lt_u32 s82, s66                                      // 000000013570: BF0A4252
	s_cselect_b32 s20, s36, s60                                // 000000013574: 85143C24
	v_readlane_b32 s82, v3, 29                                 // 000000013578: D2890052 00013B03
	s_and_b32 s82, s82, 0xffffff                               // 000000013580: 8652FF52 00FFFFFF
	s_cmp_lt_u32 s82, s66                                      // 000000013588: BF0A4252
	s_cselect_b32 s21, s36, s60                                // 00000001358C: 85153C24
	s_mov_b64 exec, s[20:21]                                   // 000000013590: BEFE0114
	global_atomic_add_f32 v6, v218, s[8:9] offset:8            // 000000013594: DD348008 0008DA06
	global_atomic_add_f32 v6, v222, s[8:9] offset:264          // 00000001359C: DD348108 0008DE06
	s_mov_b64 exec, s[36:37]                                   // 0000000135A4: BEFE0124
	v_mov_b32_e32 v6, v81                                      // 0000000135A8: 7E0C0351
	s_mov_b64 s[60:61], 0                                      // 0000000135AC: BEBC0180
	v_readlane_b32 s82, v3, 30                                 // 0000000135B0: D2890052 00013D03
	s_and_b32 s82, s82, 0xffffff                               // 0000000135B8: 8652FF52 00FFFFFF
	s_cmp_lt_u32 s82, s66                                      // 0000000135C0: BF0A4252
	s_cselect_b32 s20, s36, s60                                // 0000000135C4: 85143C24
	v_readlane_b32 s82, v3, 31                                 // 0000000135C8: D2890052 00013F03
	s_and_b32 s82, s82, 0xffffff                               // 0000000135D0: 8652FF52 00FFFFFF
	s_cmp_lt_u32 s82, s66                                      // 0000000135D8: BF0A4252
	s_cselect_b32 s21, s36, s60                                // 0000000135DC: 85153C24
	s_mov_b64 exec, s[20:21]                                   // 0000000135E0: BEFE0114
	global_atomic_add_f32 v6, v219, s[8:9] offset:8            // 0000000135E4: DD348008 0008DB06
	global_atomic_add_f32 v6, v223, s[8:9] offset:264          // 0000000135EC: DD348108 0008DF06
	s_mov_b64 exec, s[36:37]                                   // 0000000135F4: BEFE0124
	v_mov_b32_e32 v6, v82                                      // 0000000135F8: 7E0C0352
	s_mov_b64 s[60:61], 0                                      // 0000000135FC: BEBC0180
	v_readlane_b32 s82, v3, 32                                 // 000000013600: D2890052 00014103
	s_and_b32 s82, s82, 0xffffff                               // 000000013608: 8652FF52 00FFFFFF
	s_cmp_lt_u32 s82, s66                                      // 000000013610: BF0A4252
	s_cselect_b32 s20, s36, s60                                // 000000013614: 85143C24
	v_readlane_b32 s82, v3, 33                                 // 000000013618: D2890052 00014303
	s_and_b32 s82, s82, 0xffffff                               // 000000013620: 8652FF52 00FFFFFF
	s_cmp_lt_u32 s82, s66                                      // 000000013628: BF0A4252
	s_cselect_b32 s21, s36, s60                                // 00000001362C: 85153C24
	s_mov_b64 exec, s[20:21]                                   // 000000013630: BEFE0114
	global_atomic_add_f32 v6, v226, s[8:9] offset:8            // 000000013634: DD348008 0008E206
	global_atomic_add_f32 v6, v230, s[8:9] offset:264          // 00000001363C: DD348108 0008E606
	s_mov_b64 exec, s[36:37]                                   // 000000013644: BEFE0124
	v_mov_b32_e32 v6, v83                                      // 000000013648: 7E0C0353
	s_mov_b64 s[60:61], 0                                      // 00000001364C: BEBC0180
	v_readlane_b32 s82, v3, 34                                 // 000000013650: D2890052 00014503
	s_and_b32 s82, s82, 0xffffff                               // 000000013658: 8652FF52 00FFFFFF
	s_cmp_lt_u32 s82, s66                                      // 000000013660: BF0A4252
	s_cselect_b32 s20, s36, s60                                // 000000013664: 85143C24
	v_readlane_b32 s82, v3, 35                                 // 000000013668: D2890052 00014703
	s_and_b32 s82, s82, 0xffffff                               // 000000013670: 8652FF52 00FFFFFF
	s_cmp_lt_u32 s82, s66                                      // 000000013678: BF0A4252
	s_cselect_b32 s21, s36, s60                                // 00000001367C: 85153C24
	s_mov_b64 exec, s[20:21]                                   // 000000013680: BEFE0114
	global_atomic_add_f32 v6, v227, s[8:9] offset:8            // 000000013684: DD348008 0008E306
	global_atomic_add_f32 v6, v231, s[8:9] offset:264          // 00000001368C: DD348108 0008E706
	s_mov_b64 exec, s[36:37]                                   // 000000013694: BEFE0124
	s_branch label_432A                                        // 000000013698: BF820000

000000000001369c <label_432A>:
	s_waitcnt vmcnt(0) expcnt(0) lgkmcnt(0)                    // 00000001369C: BF8C0000
	s_endpgm                                                   // 0000000136A0: BF810000
